;; amdgpu-corpus repo=ROCm/rocFFT kind=compiled arch=gfx906 opt=O3
	.text
	.amdgcn_target "amdgcn-amd-amdhsa--gfx906"
	.amdhsa_code_object_version 6
	.protected	fft_rtc_back_len1400_factors_2_2_2_5_7_5_wgs_56_tpt_56_halfLds_dp_ip_CI_unitstride_sbrr_C2R_dirReg ; -- Begin function fft_rtc_back_len1400_factors_2_2_2_5_7_5_wgs_56_tpt_56_halfLds_dp_ip_CI_unitstride_sbrr_C2R_dirReg
	.globl	fft_rtc_back_len1400_factors_2_2_2_5_7_5_wgs_56_tpt_56_halfLds_dp_ip_CI_unitstride_sbrr_C2R_dirReg
	.p2align	8
	.type	fft_rtc_back_len1400_factors_2_2_2_5_7_5_wgs_56_tpt_56_halfLds_dp_ip_CI_unitstride_sbrr_C2R_dirReg,@function
fft_rtc_back_len1400_factors_2_2_2_5_7_5_wgs_56_tpt_56_halfLds_dp_ip_CI_unitstride_sbrr_C2R_dirReg: ; @fft_rtc_back_len1400_factors_2_2_2_5_7_5_wgs_56_tpt_56_halfLds_dp_ip_CI_unitstride_sbrr_C2R_dirReg
; %bb.0:
	s_load_dwordx2 s[12:13], s[4:5], 0x50
	s_load_dwordx4 s[8:11], s[4:5], 0x0
	s_load_dwordx2 s[2:3], s[4:5], 0x18
	v_mul_u32_u24_e32 v1, 0x493, v0
	v_add_u32_sdwa v5, s6, v1 dst_sel:DWORD dst_unused:UNUSED_PAD src0_sel:DWORD src1_sel:WORD_1
	v_mov_b32_e32 v3, 0
	s_waitcnt lgkmcnt(0)
	v_cmp_lt_u64_e64 s[0:1], s[10:11], 2
	v_mov_b32_e32 v1, 0
	v_mov_b32_e32 v6, v3
	s_and_b64 vcc, exec, s[0:1]
	v_mov_b32_e32 v2, 0
	s_cbranch_vccnz .LBB0_8
; %bb.1:
	s_load_dwordx2 s[0:1], s[4:5], 0x10
	s_add_u32 s6, s2, 8
	s_addc_u32 s7, s3, 0
	v_mov_b32_e32 v1, 0
	v_mov_b32_e32 v2, 0
	s_waitcnt lgkmcnt(0)
	s_add_u32 s14, s0, 8
	s_addc_u32 s15, s1, 0
	s_mov_b64 s[16:17], 1
.LBB0_2:                                ; =>This Inner Loop Header: Depth=1
	s_load_dwordx2 s[18:19], s[14:15], 0x0
                                        ; implicit-def: $vgpr7_vgpr8
	s_waitcnt lgkmcnt(0)
	v_or_b32_e32 v4, s19, v6
	v_cmp_ne_u64_e32 vcc, 0, v[3:4]
	s_and_saveexec_b64 s[0:1], vcc
	s_xor_b64 s[20:21], exec, s[0:1]
	s_cbranch_execz .LBB0_4
; %bb.3:                                ;   in Loop: Header=BB0_2 Depth=1
	v_cvt_f32_u32_e32 v4, s18
	v_cvt_f32_u32_e32 v7, s19
	s_sub_u32 s0, 0, s18
	s_subb_u32 s1, 0, s19
	v_mac_f32_e32 v4, 0x4f800000, v7
	v_rcp_f32_e32 v4, v4
	v_mul_f32_e32 v4, 0x5f7ffffc, v4
	v_mul_f32_e32 v7, 0x2f800000, v4
	v_trunc_f32_e32 v7, v7
	v_mac_f32_e32 v4, 0xcf800000, v7
	v_cvt_u32_f32_e32 v7, v7
	v_cvt_u32_f32_e32 v4, v4
	v_mul_lo_u32 v8, s0, v7
	v_mul_hi_u32 v9, s0, v4
	v_mul_lo_u32 v11, s1, v4
	v_mul_lo_u32 v10, s0, v4
	v_add_u32_e32 v8, v9, v8
	v_add_u32_e32 v8, v8, v11
	v_mul_hi_u32 v9, v4, v10
	v_mul_lo_u32 v11, v4, v8
	v_mul_hi_u32 v13, v4, v8
	v_mul_hi_u32 v12, v7, v10
	v_mul_lo_u32 v10, v7, v10
	v_mul_hi_u32 v14, v7, v8
	v_add_co_u32_e32 v9, vcc, v9, v11
	v_addc_co_u32_e32 v11, vcc, 0, v13, vcc
	v_mul_lo_u32 v8, v7, v8
	v_add_co_u32_e32 v9, vcc, v9, v10
	v_addc_co_u32_e32 v9, vcc, v11, v12, vcc
	v_addc_co_u32_e32 v10, vcc, 0, v14, vcc
	v_add_co_u32_e32 v8, vcc, v9, v8
	v_addc_co_u32_e32 v9, vcc, 0, v10, vcc
	v_add_co_u32_e32 v4, vcc, v4, v8
	v_addc_co_u32_e32 v7, vcc, v7, v9, vcc
	v_mul_lo_u32 v8, s0, v7
	v_mul_hi_u32 v9, s0, v4
	v_mul_lo_u32 v10, s1, v4
	v_mul_lo_u32 v11, s0, v4
	v_add_u32_e32 v8, v9, v8
	v_add_u32_e32 v8, v8, v10
	v_mul_lo_u32 v12, v4, v8
	v_mul_hi_u32 v13, v4, v11
	v_mul_hi_u32 v14, v4, v8
	;; [unrolled: 1-line block ×3, first 2 shown]
	v_mul_lo_u32 v11, v7, v11
	v_mul_hi_u32 v9, v7, v8
	v_add_co_u32_e32 v12, vcc, v13, v12
	v_addc_co_u32_e32 v13, vcc, 0, v14, vcc
	v_mul_lo_u32 v8, v7, v8
	v_add_co_u32_e32 v11, vcc, v12, v11
	v_addc_co_u32_e32 v10, vcc, v13, v10, vcc
	v_addc_co_u32_e32 v9, vcc, 0, v9, vcc
	v_add_co_u32_e32 v8, vcc, v10, v8
	v_addc_co_u32_e32 v9, vcc, 0, v9, vcc
	v_add_co_u32_e32 v4, vcc, v4, v8
	v_addc_co_u32_e32 v9, vcc, v7, v9, vcc
	v_mad_u64_u32 v[7:8], s[0:1], v5, v9, 0
	v_mul_hi_u32 v10, v5, v4
	v_add_co_u32_e32 v11, vcc, v10, v7
	v_addc_co_u32_e32 v12, vcc, 0, v8, vcc
	v_mad_u64_u32 v[7:8], s[0:1], v6, v4, 0
	v_mad_u64_u32 v[9:10], s[0:1], v6, v9, 0
	v_add_co_u32_e32 v4, vcc, v11, v7
	v_addc_co_u32_e32 v4, vcc, v12, v8, vcc
	v_addc_co_u32_e32 v7, vcc, 0, v10, vcc
	v_add_co_u32_e32 v4, vcc, v4, v9
	v_addc_co_u32_e32 v9, vcc, 0, v7, vcc
	v_mul_lo_u32 v10, s19, v4
	v_mul_lo_u32 v11, s18, v9
	v_mad_u64_u32 v[7:8], s[0:1], s18, v4, 0
	v_add3_u32 v8, v8, v11, v10
	v_sub_u32_e32 v10, v6, v8
	v_mov_b32_e32 v11, s19
	v_sub_co_u32_e32 v7, vcc, v5, v7
	v_subb_co_u32_e64 v10, s[0:1], v10, v11, vcc
	v_subrev_co_u32_e64 v11, s[0:1], s18, v7
	v_subbrev_co_u32_e64 v10, s[0:1], 0, v10, s[0:1]
	v_cmp_le_u32_e64 s[0:1], s19, v10
	v_cndmask_b32_e64 v12, 0, -1, s[0:1]
	v_cmp_le_u32_e64 s[0:1], s18, v11
	v_cndmask_b32_e64 v11, 0, -1, s[0:1]
	v_cmp_eq_u32_e64 s[0:1], s19, v10
	v_cndmask_b32_e64 v10, v12, v11, s[0:1]
	v_add_co_u32_e64 v11, s[0:1], 2, v4
	v_addc_co_u32_e64 v12, s[0:1], 0, v9, s[0:1]
	v_add_co_u32_e64 v13, s[0:1], 1, v4
	v_addc_co_u32_e64 v14, s[0:1], 0, v9, s[0:1]
	v_subb_co_u32_e32 v8, vcc, v6, v8, vcc
	v_cmp_ne_u32_e64 s[0:1], 0, v10
	v_cmp_le_u32_e32 vcc, s19, v8
	v_cndmask_b32_e64 v10, v14, v12, s[0:1]
	v_cndmask_b32_e64 v12, 0, -1, vcc
	v_cmp_le_u32_e32 vcc, s18, v7
	v_cndmask_b32_e64 v7, 0, -1, vcc
	v_cmp_eq_u32_e32 vcc, s19, v8
	v_cndmask_b32_e32 v7, v12, v7, vcc
	v_cmp_ne_u32_e32 vcc, 0, v7
	v_cndmask_b32_e64 v7, v13, v11, s[0:1]
	v_cndmask_b32_e32 v8, v9, v10, vcc
	v_cndmask_b32_e32 v7, v4, v7, vcc
.LBB0_4:                                ;   in Loop: Header=BB0_2 Depth=1
	s_andn2_saveexec_b64 s[0:1], s[20:21]
	s_cbranch_execz .LBB0_6
; %bb.5:                                ;   in Loop: Header=BB0_2 Depth=1
	v_cvt_f32_u32_e32 v4, s18
	s_sub_i32 s20, 0, s18
	v_rcp_iflag_f32_e32 v4, v4
	v_mul_f32_e32 v4, 0x4f7ffffe, v4
	v_cvt_u32_f32_e32 v4, v4
	v_mul_lo_u32 v7, s20, v4
	v_mul_hi_u32 v7, v4, v7
	v_add_u32_e32 v4, v4, v7
	v_mul_hi_u32 v4, v5, v4
	v_mul_lo_u32 v7, v4, s18
	v_add_u32_e32 v8, 1, v4
	v_sub_u32_e32 v7, v5, v7
	v_subrev_u32_e32 v9, s18, v7
	v_cmp_le_u32_e32 vcc, s18, v7
	v_cndmask_b32_e32 v7, v7, v9, vcc
	v_cndmask_b32_e32 v4, v4, v8, vcc
	v_add_u32_e32 v8, 1, v4
	v_cmp_le_u32_e32 vcc, s18, v7
	v_cndmask_b32_e32 v7, v4, v8, vcc
	v_mov_b32_e32 v8, v3
.LBB0_6:                                ;   in Loop: Header=BB0_2 Depth=1
	s_or_b64 exec, exec, s[0:1]
	v_mul_lo_u32 v4, v8, s18
	v_mul_lo_u32 v11, v7, s19
	v_mad_u64_u32 v[9:10], s[0:1], v7, s18, 0
	s_load_dwordx2 s[0:1], s[6:7], 0x0
	s_add_u32 s16, s16, 1
	v_add3_u32 v4, v10, v11, v4
	v_sub_co_u32_e32 v5, vcc, v5, v9
	v_subb_co_u32_e32 v4, vcc, v6, v4, vcc
	s_waitcnt lgkmcnt(0)
	v_mul_lo_u32 v4, s0, v4
	v_mul_lo_u32 v6, s1, v5
	v_mad_u64_u32 v[1:2], s[0:1], s0, v5, v[1:2]
	s_addc_u32 s17, s17, 0
	s_add_u32 s6, s6, 8
	v_add3_u32 v2, v6, v2, v4
	v_mov_b32_e32 v4, s10
	v_mov_b32_e32 v5, s11
	s_addc_u32 s7, s7, 0
	v_cmp_ge_u64_e32 vcc, s[16:17], v[4:5]
	s_add_u32 s14, s14, 8
	s_addc_u32 s15, s15, 0
	s_cbranch_vccnz .LBB0_9
; %bb.7:                                ;   in Loop: Header=BB0_2 Depth=1
	v_mov_b32_e32 v5, v7
	v_mov_b32_e32 v6, v8
	s_branch .LBB0_2
.LBB0_8:
	v_mov_b32_e32 v8, v6
	v_mov_b32_e32 v7, v5
.LBB0_9:
	s_lshl_b64 s[0:1], s[10:11], 3
	s_add_u32 s0, s2, s0
	s_addc_u32 s1, s3, s1
	s_load_dwordx2 s[2:3], s[0:1], 0x0
	s_load_dwordx2 s[6:7], s[4:5], 0x20
	s_waitcnt lgkmcnt(0)
	v_mad_u64_u32 v[1:2], s[0:1], s2, v7, v[1:2]
	v_mul_lo_u32 v3, s2, v8
	v_mul_lo_u32 v4, s3, v7
	s_mov_b32 s0, 0x4924925
	v_mul_hi_u32 v5, v0, s0
	v_cmp_gt_u64_e64 s[0:1], s[6:7], v[7:8]
	v_add3_u32 v2, v4, v2, v3
	v_lshlrev_b64 v[114:115], 4, v[1:2]
	v_mul_u32_u24_e32 v3, 56, v5
	v_sub_u32_e32 v112, v0, v3
	s_and_saveexec_b64 s[2:3], s[0:1]
	s_cbranch_execz .LBB0_13
; %bb.10:
	v_mov_b32_e32 v113, 0
	v_mov_b32_e32 v0, s13
	v_add_co_u32_e32 v1, vcc, s12, v114
	v_lshlrev_b64 v[2:3], 4, v[112:113]
	v_addc_co_u32_e32 v0, vcc, v0, v115, vcc
	v_add_co_u32_e32 v90, vcc, v1, v2
	v_addc_co_u32_e32 v91, vcc, v0, v3, vcc
	s_movk_i32 s4, 0x1000
	v_or_b32_e32 v34, 0x1c0, v112
	v_mov_b32_e32 v35, v113
	v_add_co_u32_e32 v42, vcc, s4, v90
	v_lshlrev_b64 v[34:35], 4, v[34:35]
	v_addc_co_u32_e32 v43, vcc, 0, v91, vcc
	v_add_co_u32_e32 v44, vcc, v1, v34
	v_addc_co_u32_e32 v45, vcc, v0, v35, vcc
	s_movk_i32 s4, 0x2000
	v_add_co_u32_e32 v66, vcc, s4, v90
	v_addc_co_u32_e32 v67, vcc, 0, v91, vcc
	s_movk_i32 s4, 0x3000
	v_add_co_u32_e32 v92, vcc, s4, v90
	global_load_dwordx4 v[2:5], v[90:91], off
	global_load_dwordx4 v[6:9], v[90:91], off offset:896
	global_load_dwordx4 v[10:13], v[90:91], off offset:1792
	;; [unrolled: 1-line block ×7, first 2 shown]
	global_load_dwordx4 v[34:37], v[44:45], off
	global_load_dwordx4 v[38:41], v[42:43], off offset:3968
	s_nop 0
	global_load_dwordx4 v[42:45], v[66:67], off offset:768
	global_load_dwordx4 v[46:49], v[66:67], off offset:1664
	v_addc_co_u32_e32 v93, vcc, 0, v91, vcc
	global_load_dwordx4 v[50:53], v[66:67], off offset:2560
	global_load_dwordx4 v[54:57], v[66:67], off offset:3456
	;; [unrolled: 1-line block ×4, first 2 shown]
	v_or_b32_e32 v66, 0x380, v112
	v_mov_b32_e32 v67, v113
	v_lshlrev_b64 v[66:67], 4, v[66:67]
	s_movk_i32 s4, 0x4000
	v_add_co_u32_e32 v94, vcc, v1, v66
	v_addc_co_u32_e32 v95, vcc, v0, v67, vcc
	v_add_co_u32_e32 v98, vcc, s4, v90
	v_addc_co_u32_e32 v99, vcc, 0, v91, vcc
	s_movk_i32 s4, 0x5000
	v_add_co_u32_e32 v100, vcc, s4, v90
	global_load_dwordx4 v[66:69], v[94:95], off
	global_load_dwordx4 v[70:73], v[98:99], off offset:640
	global_load_dwordx4 v[74:77], v[92:93], off offset:2944
	;; [unrolled: 1-line block ×5, first 2 shown]
	v_addc_co_u32_e32 v101, vcc, 0, v91, vcc
	global_load_dwordx4 v[90:93], v[98:99], off offset:3328
	global_load_dwordx4 v[94:97], v[100:101], off offset:128
	v_or_b32_e32 v98, 0x540, v112
	v_mov_b32_e32 v99, v113
	v_lshlrev_b64 v[98:99], 4, v[98:99]
	v_lshl_add_u32 v102, v112, 4, 0
	v_add_co_u32_e32 v98, vcc, v1, v98
	v_addc_co_u32_e32 v99, vcc, v0, v99, vcc
	global_load_dwordx4 v[98:101], v[98:99], off
	v_cmp_eq_u32_e32 vcc, 55, v112
	s_waitcnt vmcnt(24)
	ds_write_b128 v102, v[2:5]
	s_waitcnt vmcnt(23)
	ds_write_b128 v102, v[6:9] offset:896
	s_waitcnt vmcnt(22)
	ds_write_b128 v102, v[10:13] offset:1792
	;; [unrolled: 2-line block ×18, first 2 shown]
	ds_write_b128 v102, v[70:73] offset:17024
	s_waitcnt vmcnt(4)
	ds_write_b128 v102, v[82:85] offset:17920
	s_waitcnt vmcnt(3)
	;; [unrolled: 2-line block ×5, first 2 shown]
	ds_write_b128 v102, v[98:101] offset:21504
	s_and_saveexec_b64 s[4:5], vcc
	s_cbranch_execz .LBB0_12
; %bb.11:
	v_add_co_u32_e32 v1, vcc, 0x5000, v1
	v_addc_co_u32_e32 v2, vcc, 0, v0, vcc
	global_load_dwordx4 v[0:3], v[1:2], off offset:1920
	v_mov_b32_e32 v112, 55
	s_waitcnt vmcnt(0)
	ds_write_b128 v113, v[0:3] offset:22400
.LBB0_12:
	s_or_b64 exec, exec, s[4:5]
.LBB0_13:
	s_or_b64 exec, exec, s[2:3]
	v_lshlrev_b32_e32 v0, 4, v112
	v_add_u32_e32 v118, 0, v0
	s_waitcnt lgkmcnt(0)
	; wave barrier
	s_waitcnt lgkmcnt(0)
	v_sub_u32_e32 v10, 0, v0
	ds_read_b64 v[6:7], v118
	ds_read_b64 v[8:9], v10 offset:22400
	s_add_u32 s4, s8, 0x5760
	s_addc_u32 s5, s9, 0
	v_cmp_ne_u32_e32 vcc, 0, v112
                                        ; implicit-def: $vgpr4_vgpr5
	s_waitcnt lgkmcnt(0)
	v_add_f64 v[0:1], v[6:7], v[8:9]
	v_add_f64 v[2:3], v[6:7], -v[8:9]
	s_and_saveexec_b64 s[2:3], vcc
	s_xor_b64 s[2:3], exec, s[2:3]
	s_cbranch_execz .LBB0_15
; %bb.14:
	v_mov_b32_e32 v113, 0
	v_lshlrev_b64 v[0:1], 4, v[112:113]
	v_mov_b32_e32 v2, s5
	v_add_co_u32_e32 v0, vcc, s4, v0
	v_addc_co_u32_e32 v1, vcc, v2, v1, vcc
	global_load_dwordx4 v[2:5], v[0:1], off
	ds_read_b64 v[0:1], v10 offset:22408
	ds_read_b64 v[11:12], v118 offset:8
	v_add_f64 v[13:14], v[6:7], v[8:9]
	v_add_f64 v[8:9], v[6:7], -v[8:9]
	s_waitcnt lgkmcnt(0)
	v_add_f64 v[15:16], v[0:1], v[11:12]
	v_add_f64 v[0:1], v[11:12], -v[0:1]
	s_waitcnt vmcnt(0)
	v_fma_f64 v[6:7], -v[8:9], v[4:5], v[13:14]
	v_fma_f64 v[11:12], v[15:16], v[4:5], -v[0:1]
	v_fma_f64 v[13:14], v[8:9], v[4:5], v[13:14]
	v_fma_f64 v[17:18], v[15:16], v[4:5], v[0:1]
	;; [unrolled: 1-line block ×4, first 2 shown]
	v_fma_f64 v[0:1], -v[15:16], v[2:3], v[13:14]
	v_fma_f64 v[2:3], v[8:9], v[2:3], v[17:18]
	ds_write_b128 v10, v[4:7] offset:22400
	v_mov_b32_e32 v4, v112
	v_mov_b32_e32 v5, v113
.LBB0_15:
	s_andn2_saveexec_b64 s[2:3], s[2:3]
	s_cbranch_execz .LBB0_17
; %bb.16:
	v_mov_b32_e32 v8, 0
	ds_read_b128 v[4:7], v8 offset:11200
	s_waitcnt lgkmcnt(0)
	v_add_f64 v[11:12], v[4:5], v[4:5]
	v_mul_f64 v[13:14], v[6:7], -2.0
	v_mov_b32_e32 v4, 0
	v_mov_b32_e32 v5, 0
	ds_write_b128 v8, v[11:14] offset:11200
.LBB0_17:
	s_or_b64 exec, exec, s[2:3]
	v_lshlrev_b64 v[4:5], 4, v[4:5]
	v_mov_b32_e32 v6, s5
	v_add_co_u32_e32 v4, vcc, s4, v4
	v_addc_co_u32_e32 v5, vcc, v6, v5, vcc
	global_load_dwordx4 v[6:9], v[4:5], off offset:896
	global_load_dwordx4 v[11:14], v[4:5], off offset:1792
	ds_write_b128 v118, v[0:3]
	ds_read_b128 v[0:3], v118 offset:896
	ds_read_b128 v[15:18], v10 offset:21504
	global_load_dwordx4 v[19:22], v[4:5], off offset:2688
	s_movk_i32 s2, 0x1000
	v_or_b32_e32 v104, 0x1c0, v112
	v_mov_b32_e32 v105, 0
	s_waitcnt lgkmcnt(0)
	v_add_f64 v[23:24], v[0:1], v[15:16]
	v_add_f64 v[25:26], v[17:18], v[2:3]
	v_add_f64 v[27:28], v[0:1], -v[15:16]
	v_add_f64 v[0:1], v[2:3], -v[17:18]
	s_waitcnt vmcnt(2)
	v_fma_f64 v[2:3], v[27:28], v[8:9], v[23:24]
	v_fma_f64 v[15:16], v[25:26], v[8:9], v[0:1]
	v_fma_f64 v[17:18], -v[27:28], v[8:9], v[23:24]
	v_fma_f64 v[8:9], v[25:26], v[8:9], -v[0:1]
	v_fma_f64 v[0:1], -v[25:26], v[6:7], v[2:3]
	v_fma_f64 v[2:3], v[27:28], v[6:7], v[15:16]
	v_fma_f64 v[15:16], v[25:26], v[6:7], v[17:18]
	;; [unrolled: 1-line block ×3, first 2 shown]
	ds_write_b128 v118, v[0:3] offset:896
	ds_write_b128 v10, v[15:18] offset:21504
	ds_read_b128 v[0:3], v118 offset:1792
	ds_read_b128 v[6:9], v10 offset:20608
	global_load_dwordx4 v[15:18], v[4:5], off offset:3584
	s_waitcnt lgkmcnt(0)
	v_add_f64 v[23:24], v[0:1], v[6:7]
	v_add_f64 v[25:26], v[8:9], v[2:3]
	v_add_f64 v[27:28], v[0:1], -v[6:7]
	v_add_f64 v[0:1], v[2:3], -v[8:9]
	s_waitcnt vmcnt(2)
	v_fma_f64 v[2:3], v[27:28], v[13:14], v[23:24]
	v_fma_f64 v[6:7], v[25:26], v[13:14], v[0:1]
	v_fma_f64 v[8:9], -v[27:28], v[13:14], v[23:24]
	v_fma_f64 v[13:14], v[25:26], v[13:14], -v[0:1]
	v_add_co_u32_e32 v23, vcc, s2, v4
	v_addc_co_u32_e32 v24, vcc, 0, v5, vcc
	v_fma_f64 v[0:1], -v[25:26], v[11:12], v[2:3]
	v_fma_f64 v[2:3], v[27:28], v[11:12], v[6:7]
	v_fma_f64 v[6:7], v[25:26], v[11:12], v[8:9]
	;; [unrolled: 1-line block ×3, first 2 shown]
	ds_write_b128 v118, v[0:3] offset:1792
	ds_write_b128 v10, v[6:9] offset:20608
	ds_read_b128 v[0:3], v118 offset:2688
	ds_read_b128 v[6:9], v10 offset:19712
	global_load_dwordx4 v[11:14], v[23:24], off offset:384
	s_movk_i32 s2, 0x2000
	s_waitcnt lgkmcnt(0)
	v_add_f64 v[25:26], v[0:1], v[6:7]
	v_add_f64 v[27:28], v[8:9], v[2:3]
	v_add_f64 v[29:30], v[0:1], -v[6:7]
	v_add_f64 v[0:1], v[2:3], -v[8:9]
	s_waitcnt vmcnt(2)
	v_fma_f64 v[2:3], v[29:30], v[21:22], v[25:26]
	v_fma_f64 v[6:7], v[27:28], v[21:22], v[0:1]
	v_fma_f64 v[8:9], -v[29:30], v[21:22], v[25:26]
	v_fma_f64 v[21:22], v[27:28], v[21:22], -v[0:1]
	v_fma_f64 v[0:1], -v[27:28], v[19:20], v[2:3]
	v_fma_f64 v[2:3], v[29:30], v[19:20], v[6:7]
	v_fma_f64 v[6:7], v[27:28], v[19:20], v[8:9]
	;; [unrolled: 1-line block ×3, first 2 shown]
	ds_write_b128 v118, v[0:3] offset:2688
	ds_write_b128 v10, v[6:9] offset:19712
	ds_read_b128 v[0:3], v118 offset:3584
	ds_read_b128 v[6:9], v10 offset:18816
	global_load_dwordx4 v[19:22], v[23:24], off offset:1280
	s_waitcnt lgkmcnt(0)
	v_add_f64 v[25:26], v[0:1], v[6:7]
	v_add_f64 v[27:28], v[8:9], v[2:3]
	v_add_f64 v[29:30], v[0:1], -v[6:7]
	v_add_f64 v[0:1], v[2:3], -v[8:9]
	s_waitcnt vmcnt(2)
	v_fma_f64 v[2:3], v[29:30], v[17:18], v[25:26]
	v_fma_f64 v[6:7], v[27:28], v[17:18], v[0:1]
	v_fma_f64 v[8:9], -v[29:30], v[17:18], v[25:26]
	v_fma_f64 v[17:18], v[27:28], v[17:18], -v[0:1]
	v_fma_f64 v[0:1], -v[27:28], v[15:16], v[2:3]
	v_fma_f64 v[2:3], v[29:30], v[15:16], v[6:7]
	v_fma_f64 v[6:7], v[27:28], v[15:16], v[8:9]
	;; [unrolled: 1-line block ×3, first 2 shown]
	ds_write_b128 v118, v[0:3] offset:3584
	ds_write_b128 v10, v[6:9] offset:18816
	ds_read_b128 v[0:3], v118 offset:4480
	ds_read_b128 v[6:9], v10 offset:17920
	global_load_dwordx4 v[15:18], v[23:24], off offset:2176
	s_waitcnt lgkmcnt(0)
	v_add_f64 v[25:26], v[0:1], v[6:7]
	v_add_f64 v[27:28], v[8:9], v[2:3]
	v_add_f64 v[29:30], v[0:1], -v[6:7]
	v_add_f64 v[0:1], v[2:3], -v[8:9]
	s_waitcnt vmcnt(2)
	v_fma_f64 v[2:3], v[29:30], v[13:14], v[25:26]
	v_fma_f64 v[6:7], v[27:28], v[13:14], v[0:1]
	v_fma_f64 v[8:9], -v[29:30], v[13:14], v[25:26]
	v_fma_f64 v[13:14], v[27:28], v[13:14], -v[0:1]
	v_fma_f64 v[0:1], -v[27:28], v[11:12], v[2:3]
	v_fma_f64 v[2:3], v[29:30], v[11:12], v[6:7]
	v_fma_f64 v[6:7], v[27:28], v[11:12], v[8:9]
	;; [unrolled: 1-line block ×3, first 2 shown]
	v_lshlrev_b64 v[11:12], 4, v[104:105]
	v_mov_b32_e32 v13, s5
	v_add_co_u32_e32 v11, vcc, s4, v11
	ds_write_b128 v118, v[0:3] offset:4480
	ds_write_b128 v10, v[6:9] offset:17920
	v_addc_co_u32_e32 v12, vcc, v13, v12, vcc
	ds_read_b128 v[0:3], v118 offset:5376
	ds_read_b128 v[6:9], v10 offset:17024
	global_load_dwordx4 v[11:14], v[11:12], off
	s_waitcnt lgkmcnt(0)
	v_add_f64 v[25:26], v[0:1], v[6:7]
	v_add_f64 v[27:28], v[8:9], v[2:3]
	v_add_f64 v[29:30], v[0:1], -v[6:7]
	v_add_f64 v[0:1], v[2:3], -v[8:9]
	s_waitcnt vmcnt(2)
	v_fma_f64 v[2:3], v[29:30], v[21:22], v[25:26]
	v_fma_f64 v[6:7], v[27:28], v[21:22], v[0:1]
	v_fma_f64 v[8:9], -v[29:30], v[21:22], v[25:26]
	v_fma_f64 v[21:22], v[27:28], v[21:22], -v[0:1]
	v_fma_f64 v[0:1], -v[27:28], v[19:20], v[2:3]
	v_fma_f64 v[2:3], v[29:30], v[19:20], v[6:7]
	v_fma_f64 v[6:7], v[27:28], v[19:20], v[8:9]
	;; [unrolled: 1-line block ×3, first 2 shown]
	ds_write_b128 v118, v[0:3] offset:5376
	ds_write_b128 v10, v[6:9] offset:17024
	ds_read_b128 v[0:3], v118 offset:6272
	ds_read_b128 v[6:9], v10 offset:16128
	global_load_dwordx4 v[19:22], v[23:24], off offset:3968
	s_waitcnt lgkmcnt(0)
	v_add_f64 v[23:24], v[0:1], v[6:7]
	v_add_f64 v[25:26], v[8:9], v[2:3]
	v_add_f64 v[27:28], v[0:1], -v[6:7]
	v_add_f64 v[0:1], v[2:3], -v[8:9]
	s_waitcnt vmcnt(2)
	v_fma_f64 v[2:3], v[27:28], v[17:18], v[23:24]
	v_fma_f64 v[6:7], v[25:26], v[17:18], v[0:1]
	v_fma_f64 v[8:9], -v[27:28], v[17:18], v[23:24]
	v_fma_f64 v[17:18], v[25:26], v[17:18], -v[0:1]
	v_fma_f64 v[0:1], -v[25:26], v[15:16], v[2:3]
	v_fma_f64 v[2:3], v[27:28], v[15:16], v[6:7]
	v_fma_f64 v[6:7], v[25:26], v[15:16], v[8:9]
	;; [unrolled: 1-line block ×3, first 2 shown]
	ds_write_b128 v118, v[0:3] offset:6272
	ds_write_b128 v10, v[6:9] offset:16128
	v_add_co_u32_e32 v0, vcc, s2, v4
	v_addc_co_u32_e32 v1, vcc, 0, v5, vcc
	ds_read_b128 v[6:9], v118 offset:7168
	ds_read_b128 v[15:18], v10 offset:15232
	global_load_dwordx4 v[2:5], v[0:1], off offset:768
	v_cmp_gt_u32_e32 vcc, 28, v112
	s_waitcnt lgkmcnt(0)
	v_add_f64 v[23:24], v[6:7], v[15:16]
	v_add_f64 v[25:26], v[17:18], v[8:9]
	v_add_f64 v[15:16], v[6:7], -v[15:16]
	v_add_f64 v[6:7], v[8:9], -v[17:18]
	s_waitcnt vmcnt(2)
	v_fma_f64 v[8:9], v[15:16], v[13:14], v[23:24]
	v_fma_f64 v[17:18], v[25:26], v[13:14], v[6:7]
	v_fma_f64 v[23:24], -v[15:16], v[13:14], v[23:24]
	v_fma_f64 v[27:28], v[25:26], v[13:14], -v[6:7]
	v_fma_f64 v[6:7], -v[25:26], v[11:12], v[8:9]
	v_fma_f64 v[8:9], v[15:16], v[11:12], v[17:18]
	v_fma_f64 v[13:14], v[25:26], v[11:12], v[23:24]
	;; [unrolled: 1-line block ×3, first 2 shown]
	ds_write_b128 v118, v[6:9] offset:7168
	ds_write_b128 v10, v[13:16] offset:15232
	ds_read_b128 v[6:9], v118 offset:8064
	ds_read_b128 v[11:14], v10 offset:14336
	global_load_dwordx4 v[15:18], v[0:1], off offset:1664
	s_waitcnt lgkmcnt(0)
	v_add_f64 v[23:24], v[6:7], v[11:12]
	v_add_f64 v[25:26], v[13:14], v[8:9]
	v_add_f64 v[27:28], v[6:7], -v[11:12]
	v_add_f64 v[6:7], v[8:9], -v[13:14]
	s_waitcnt vmcnt(2)
	v_fma_f64 v[8:9], v[27:28], v[21:22], v[23:24]
	v_fma_f64 v[11:12], v[25:26], v[21:22], v[6:7]
	v_fma_f64 v[13:14], -v[27:28], v[21:22], v[23:24]
	v_fma_f64 v[21:22], v[25:26], v[21:22], -v[6:7]
	v_fma_f64 v[6:7], -v[25:26], v[19:20], v[8:9]
	v_fma_f64 v[8:9], v[27:28], v[19:20], v[11:12]
	v_fma_f64 v[11:12], v[25:26], v[19:20], v[13:14]
	;; [unrolled: 1-line block ×3, first 2 shown]
	ds_write_b128 v118, v[6:9] offset:8064
	ds_write_b128 v10, v[11:14] offset:14336
	ds_read_b128 v[6:9], v118 offset:8960
	ds_read_b128 v[11:14], v10 offset:13440
	s_waitcnt lgkmcnt(0)
	v_add_f64 v[19:20], v[6:7], v[11:12]
	v_add_f64 v[21:22], v[13:14], v[8:9]
	v_add_f64 v[23:24], v[6:7], -v[11:12]
	v_add_f64 v[6:7], v[8:9], -v[13:14]
	s_waitcnt vmcnt(1)
	v_fma_f64 v[8:9], v[23:24], v[4:5], v[19:20]
	v_fma_f64 v[11:12], v[21:22], v[4:5], v[6:7]
	v_fma_f64 v[13:14], -v[23:24], v[4:5], v[19:20]
	v_fma_f64 v[19:20], v[21:22], v[4:5], -v[6:7]
	v_fma_f64 v[4:5], -v[21:22], v[2:3], v[8:9]
	v_fma_f64 v[6:7], v[23:24], v[2:3], v[11:12]
	v_fma_f64 v[11:12], v[21:22], v[2:3], v[13:14]
	;; [unrolled: 1-line block ×3, first 2 shown]
	ds_write_b128 v118, v[4:7] offset:8960
	ds_write_b128 v10, v[11:14] offset:13440
	ds_read_b128 v[2:5], v118 offset:9856
	ds_read_b128 v[6:9], v10 offset:12544
	s_waitcnt lgkmcnt(0)
	v_add_f64 v[11:12], v[2:3], v[6:7]
	v_add_f64 v[13:14], v[8:9], v[4:5]
	v_add_f64 v[19:20], v[2:3], -v[6:7]
	v_add_f64 v[2:3], v[4:5], -v[8:9]
	s_waitcnt vmcnt(0)
	v_fma_f64 v[4:5], v[19:20], v[17:18], v[11:12]
	v_fma_f64 v[6:7], v[13:14], v[17:18], v[2:3]
	v_fma_f64 v[8:9], -v[19:20], v[17:18], v[11:12]
	v_fma_f64 v[11:12], v[13:14], v[17:18], -v[2:3]
	v_fma_f64 v[2:3], -v[13:14], v[15:16], v[4:5]
	v_fma_f64 v[4:5], v[19:20], v[15:16], v[6:7]
	v_fma_f64 v[6:7], v[13:14], v[15:16], v[8:9]
	;; [unrolled: 1-line block ×3, first 2 shown]
	ds_write_b128 v118, v[2:5] offset:9856
	ds_write_b128 v10, v[6:9] offset:12544
	s_and_saveexec_b64 s[2:3], vcc
	s_cbranch_execz .LBB0_19
; %bb.18:
	global_load_dwordx4 v[0:3], v[0:1], off offset:2560
	ds_read_b128 v[4:7], v118 offset:10752
	ds_read_b128 v[11:14], v10 offset:11648
	s_waitcnt lgkmcnt(0)
	v_add_f64 v[8:9], v[4:5], v[11:12]
	v_add_f64 v[15:16], v[13:14], v[6:7]
	v_add_f64 v[11:12], v[4:5], -v[11:12]
	v_add_f64 v[4:5], v[6:7], -v[13:14]
	s_waitcnt vmcnt(0)
	v_fma_f64 v[6:7], v[11:12], v[2:3], v[8:9]
	v_fma_f64 v[13:14], v[15:16], v[2:3], v[4:5]
	v_fma_f64 v[8:9], -v[11:12], v[2:3], v[8:9]
	v_fma_f64 v[17:18], v[15:16], v[2:3], -v[4:5]
	v_fma_f64 v[2:3], -v[15:16], v[0:1], v[6:7]
	v_fma_f64 v[4:5], v[11:12], v[0:1], v[13:14]
	v_fma_f64 v[6:7], v[15:16], v[0:1], v[8:9]
	;; [unrolled: 1-line block ×3, first 2 shown]
	ds_write_b128 v118, v[2:5] offset:10752
	ds_write_b128 v10, v[6:9] offset:11648
.LBB0_19:
	s_or_b64 exec, exec, s[2:3]
	s_waitcnt lgkmcnt(0)
	; wave barrier
	s_waitcnt lgkmcnt(0)
	s_waitcnt lgkmcnt(0)
	; wave barrier
	s_waitcnt lgkmcnt(0)
	ds_read_b128 v[0:3], v118 offset:11200
	ds_read_b128 v[4:7], v118
	ds_read_b128 v[8:11], v118 offset:896
	ds_read_b128 v[12:15], v118 offset:10752
	;; [unrolled: 1-line block ×24, first 2 shown]
	s_waitcnt lgkmcnt(14)
	v_add_f64 v[0:1], v[4:5], -v[0:1]
	v_add_f64 v[2:3], v[6:7], -v[2:3]
	;; [unrolled: 1-line block ×6, first 2 shown]
	v_lshl_add_u32 v105, v112, 5, 0
	s_waitcnt lgkmcnt(0)
	v_fma_f64 v[4:5], v[4:5], 2.0, -v[0:1]
	v_fma_f64 v[6:7], v[6:7], 2.0, -v[2:3]
	; wave barrier
	ds_write_b128 v105, v[0:3] offset:16
	v_fma_f64 v[0:1], v[24:25], 2.0, -v[20:21]
	v_fma_f64 v[2:3], v[26:27], 2.0, -v[22:23]
	v_add_u32_e32 v121, 56, v112
	v_lshl_add_u32 v24, v121, 5, 0
	v_add_u32_e32 v120, 0x70, v112
	ds_write_b128 v105, v[4:7]
	v_fma_f64 v[4:5], v[8:9], 2.0, -v[16:17]
	v_fma_f64 v[6:7], v[10:11], 2.0, -v[18:19]
	v_add_f64 v[8:9], v[28:29], -v[32:33]
	v_add_f64 v[10:11], v[30:31], -v[34:35]
	ds_write_b128 v24, v[4:7]
	ds_write_b128 v24, v[16:19] offset:16
	v_lshl_add_u32 v16, v120, 5, 0
	ds_write_b128 v16, v[0:3]
	v_fma_f64 v[0:1], v[28:29], 2.0, -v[8:9]
	v_fma_f64 v[2:3], v[30:31], 2.0, -v[10:11]
	v_add_f64 v[4:5], v[40:41], -v[36:37]
	v_add_f64 v[6:7], v[42:43], -v[38:39]
	v_add_u32_e32 v119, 0xa8, v112
	ds_write_b128 v16, v[20:23] offset:16
	v_add_f64 v[16:17], v[44:45], -v[48:49]
	v_add_f64 v[18:19], v[46:47], -v[50:51]
	v_lshl_add_u32 v20, v119, 5, 0
	ds_write_b128 v20, v[0:3]
	v_fma_f64 v[0:1], v[40:41], 2.0, -v[4:5]
	v_fma_f64 v[2:3], v[42:43], 2.0, -v[6:7]
	v_add_f64 v[24:25], v[56:57], -v[52:53]
	v_add_f64 v[26:27], v[58:59], -v[54:55]
	v_add_u32_e32 v113, 0xe0, v112
	ds_write_b128 v20, v[8:11] offset:16
	v_fma_f64 v[20:21], v[44:45], 2.0, -v[16:17]
	v_fma_f64 v[22:23], v[46:47], 2.0, -v[18:19]
	v_lshl_add_u32 v8, v113, 5, 0
	ds_write_b128 v8, v[0:3]
	ds_write_b128 v8, v[4:7] offset:16
	v_add_u32_e32 v8, 0x118, v112
	v_lshl_add_u32 v9, v8, 5, 0
	v_fma_f64 v[0:1], v[56:57], 2.0, -v[24:25]
	v_fma_f64 v[2:3], v[58:59], 2.0, -v[26:27]
	v_add_f64 v[4:5], v[60:61], -v[64:65]
	v_add_f64 v[6:7], v[62:63], -v[66:67]
	ds_write_b128 v9, v[16:19] offset:16
	v_add_f64 v[16:17], v[72:73], -v[68:69]
	v_add_f64 v[18:19], v[74:75], -v[70:71]
	ds_write_b128 v9, v[20:23]
	v_add_u32_e32 v9, 0x150, v112
	v_lshl_add_u32 v10, v9, 5, 0
	ds_write_b128 v10, v[0:3]
	v_fma_f64 v[0:1], v[60:61], 2.0, -v[4:5]
	v_fma_f64 v[2:3], v[62:63], 2.0, -v[6:7]
	ds_write_b128 v10, v[24:27] offset:16
	v_fma_f64 v[24:25], v[72:73], 2.0, -v[16:17]
	v_fma_f64 v[26:27], v[74:75], 2.0, -v[18:19]
	v_add_f64 v[20:21], v[76:77], -v[80:81]
	v_add_f64 v[22:23], v[78:79], -v[82:83]
	v_add_u32_e32 v10, 0x188, v112
	v_lshl_add_u32 v11, v10, 5, 0
	ds_write_b128 v11, v[0:3]
	ds_write_b128 v11, v[4:7] offset:16
	v_lshl_add_u32 v4, v104, 5, 0
	ds_write_b128 v4, v[16:19] offset:16
	ds_write_b128 v4, v[24:27]
	v_add_f64 v[24:25], v[88:89], -v[84:85]
	v_add_f64 v[26:27], v[90:91], -v[86:87]
	v_fma_f64 v[0:1], v[76:77], 2.0, -v[20:21]
	v_fma_f64 v[2:3], v[78:79], 2.0, -v[22:23]
	v_add_f64 v[16:17], v[92:93], -v[96:97]
	v_add_f64 v[18:19], v[94:95], -v[98:99]
	;; [unrolled: 1-line block ×4, first 2 shown]
	v_add_u32_e32 v106, 0x1f8, v112
	v_lshl_add_u32 v11, v106, 5, 0
	v_fma_f64 v[28:29], v[88:89], 2.0, -v[24:25]
	v_fma_f64 v[30:31], v[90:91], 2.0, -v[26:27]
	ds_write_b128 v11, v[0:3]
	ds_write_b128 v11, v[20:23] offset:16
	v_fma_f64 v[20:21], v[92:93], 2.0, -v[16:17]
	v_fma_f64 v[22:23], v[94:95], 2.0, -v[18:19]
	;; [unrolled: 1-line block ×4, first 2 shown]
	v_add_u32_e32 v125, 0x230, v112
	v_lshl_add_u32 v11, v125, 5, 0
	v_add_u32_e32 v126, 0x268, v112
	ds_write_b128 v11, v[28:31]
	ds_write_b128 v11, v[24:27] offset:16
	v_lshl_add_u32 v11, v126, 5, 0
	v_add_u32_e32 v124, 0x2a0, v112
	ds_write_b128 v11, v[20:23]
	ds_write_b128 v11, v[16:19] offset:16
	s_and_saveexec_b64 s[2:3], vcc
	s_cbranch_execz .LBB0_21
; %bb.20:
	v_lshl_add_u32 v11, v124, 5, 0
	ds_write_b128 v11, v[0:3]
	ds_write_b128 v11, v[4:7] offset:16
.LBB0_21:
	s_or_b64 exec, exec, s[2:3]
	v_lshlrev_b32_e32 v109, 1, v8
	v_lshlrev_b32_e32 v107, 1, v9
	;; [unrolled: 1-line block ×3, first 2 shown]
	s_waitcnt lgkmcnt(0)
	; wave barrier
	s_waitcnt lgkmcnt(0)
	ds_read_b128 v[12:15], v118
	ds_read_b128 v[16:19], v118 offset:896
	ds_read_b128 v[60:63], v118 offset:11200
	;; [unrolled: 1-line block ×23, first 2 shown]
	v_lshlrev_b32_e32 v122, 1, v112
	v_lshlrev_b32_e32 v123, 1, v121
	;; [unrolled: 1-line block ×9, first 2 shown]
	s_and_saveexec_b64 s[2:3], vcc
	s_cbranch_execz .LBB0_23
; %bb.22:
	ds_read_b128 v[0:3], v118 offset:10752
	ds_read_b128 v[4:7], v118 offset:21952
.LBB0_23:
	s_or_b64 exec, exec, s[2:3]
	v_and_b32_e32 v125, 1, v112
	v_lshlrev_b32_e32 v126, 4, v125
	global_load_dwordx4 v[126:129], v126, s[8:9]
	s_movk_i32 s2, 0x7c
	v_and_or_b32 v130, v122, s2, v125
	v_lshl_add_u32 v180, v130, 4, 0
	s_movk_i32 s3, 0xfc
	s_movk_i32 s2, 0x1fc
	s_waitcnt lgkmcnt(0)
	; wave barrier
	s_waitcnt lgkmcnt(0)
	v_lshlrev_b32_e32 v124, 1, v124
	s_waitcnt vmcnt(0)
	v_mul_f64 v[134:135], v[10:11], v[128:129]
	v_mul_f64 v[136:137], v[8:9], v[128:129]
	;; [unrolled: 1-line block ×13, first 2 shown]
	v_fma_f64 v[8:9], v[8:9], v[126:127], v[134:135]
	v_fma_f64 v[10:11], v[10:11], v[126:127], -v[136:137]
	v_fma_f64 v[60:61], v[60:61], v[126:127], v[130:131]
	v_fma_f64 v[62:63], v[62:63], v[126:127], -v[132:133]
	v_mul_f64 v[154:155], v[86:87], v[128:129]
	v_mul_f64 v[156:157], v[84:85], v[128:129]
	v_fma_f64 v[68:69], v[68:69], v[126:127], v[138:139]
	v_fma_f64 v[70:71], v[70:71], v[126:127], -v[140:141]
	v_mul_f64 v[158:159], v[82:83], v[128:129]
	v_mul_f64 v[160:161], v[80:81], v[128:129]
	;; [unrolled: 4-line block ×3, first 2 shown]
	v_mul_f64 v[166:167], v[90:91], v[128:129]
	v_mul_f64 v[168:169], v[88:89], v[128:129]
	;; [unrolled: 1-line block ×7, first 2 shown]
	v_fma_f64 v[76:77], v[76:77], v[126:127], v[146:147]
	v_fma_f64 v[78:79], v[78:79], v[126:127], -v[148:149]
	v_fma_f64 v[4:5], v[4:5], v[126:127], v[178:179]
	v_fma_f64 v[134:135], v[72:73], v[126:127], v[150:151]
	v_fma_f64 v[136:137], v[74:75], v[126:127], -v[152:153]
	v_add_f64 v[64:65], v[16:17], -v[8:9]
	v_add_f64 v[66:67], v[18:19], -v[10:11]
	v_add_f64 v[60:61], v[12:13], -v[60:61]
	v_add_f64 v[62:63], v[14:15], -v[62:63]
	v_fma_f64 v[84:85], v[84:85], v[126:127], v[154:155]
	v_fma_f64 v[86:87], v[86:87], v[126:127], -v[156:157]
	v_add_f64 v[68:69], v[20:21], -v[68:69]
	v_add_f64 v[70:71], v[22:23], -v[70:71]
	v_fma_f64 v[138:139], v[80:81], v[126:127], v[158:159]
	v_fma_f64 v[140:141], v[82:83], v[126:127], -v[160:161]
	v_add_f64 v[72:73], v[24:25], -v[130:131]
	v_add_f64 v[74:75], v[26:27], -v[132:133]
	v_fma_f64 v[92:93], v[92:93], v[126:127], v[162:163]
	v_fma_f64 v[94:95], v[94:95], v[126:127], -v[164:165]
	v_add_f64 v[76:77], v[28:29], -v[76:77]
	v_add_f64 v[78:79], v[30:31], -v[78:79]
	v_add_f64 v[8:9], v[0:1], -v[4:5]
	v_fma_f64 v[142:143], v[88:89], v[126:127], v[166:167]
	v_fma_f64 v[144:145], v[90:91], v[126:127], -v[168:169]
	v_add_f64 v[80:81], v[32:33], -v[134:135]
	v_add_f64 v[82:83], v[34:35], -v[136:137]
	v_fma_f64 v[16:17], v[16:17], 2.0, -v[64:65]
	v_fma_f64 v[18:19], v[18:19], 2.0, -v[66:67]
	v_fma_f64 v[12:13], v[12:13], 2.0, -v[60:61]
	v_fma_f64 v[14:15], v[14:15], 2.0, -v[62:63]
	v_fma_f64 v[100:101], v[100:101], v[126:127], v[170:171]
	v_fma_f64 v[102:103], v[102:103], v[126:127], -v[172:173]
	v_add_f64 v[84:85], v[36:37], -v[84:85]
	v_add_f64 v[86:87], v[38:39], -v[86:87]
	v_fma_f64 v[20:21], v[20:21], 2.0, -v[68:69]
	v_fma_f64 v[22:23], v[22:23], 2.0, -v[70:71]
	v_fma_f64 v[146:147], v[96:97], v[126:127], v[174:175]
	v_fma_f64 v[148:149], v[98:99], v[126:127], -v[176:177]
	v_fma_f64 v[6:7], v[6:7], v[126:127], -v[128:129]
	v_add_f64 v[88:89], v[40:41], -v[138:139]
	v_add_f64 v[90:91], v[42:43], -v[140:141]
	v_fma_f64 v[24:25], v[24:25], 2.0, -v[72:73]
	v_fma_f64 v[26:27], v[26:27], 2.0, -v[74:75]
	v_add_f64 v[92:93], v[44:45], -v[92:93]
	v_add_f64 v[94:95], v[46:47], -v[94:95]
	v_fma_f64 v[28:29], v[28:29], 2.0, -v[76:77]
	v_fma_f64 v[30:31], v[30:31], 2.0, -v[78:79]
	;; [unrolled: 1-line block ×3, first 2 shown]
	v_and_or_b32 v0, v123, s3, v125
	v_lshl_add_u32 v0, v0, 4, 0
	v_add_f64 v[96:97], v[48:49], -v[142:143]
	v_add_f64 v[98:99], v[50:51], -v[144:145]
	v_fma_f64 v[32:33], v[32:33], 2.0, -v[80:81]
	v_fma_f64 v[34:35], v[34:35], 2.0, -v[82:83]
	ds_write_b128 v180, v[60:63] offset:32
	ds_write_b128 v180, v[12:15]
	ds_write_b128 v0, v[16:19]
	ds_write_b128 v0, v[64:67] offset:32
	v_and_or_b32 v0, v117, s2, v125
	v_lshl_add_u32 v0, v0, 4, 0
	v_add_f64 v[100:101], v[52:53], -v[100:101]
	v_add_f64 v[102:103], v[54:55], -v[102:103]
	v_fma_f64 v[36:37], v[36:37], 2.0, -v[84:85]
	v_fma_f64 v[38:39], v[38:39], 2.0, -v[86:87]
	ds_write_b128 v0, v[20:23]
	ds_write_b128 v0, v[68:71] offset:32
	v_and_or_b32 v0, v116, s2, v125
	v_lshl_add_u32 v0, v0, 4, 0
	s_movk_i32 s2, 0x3fc
	v_add_f64 v[126:127], v[56:57], -v[146:147]
	v_add_f64 v[128:129], v[58:59], -v[148:149]
	;; [unrolled: 1-line block ×3, first 2 shown]
	v_fma_f64 v[40:41], v[40:41], 2.0, -v[88:89]
	v_fma_f64 v[42:43], v[42:43], 2.0, -v[90:91]
	ds_write_b128 v0, v[24:27]
	ds_write_b128 v0, v[72:75] offset:32
	v_and_or_b32 v0, v111, s2, v125
	v_lshl_add_u32 v0, v0, 4, 0
	s_movk_i32 s3, 0x2fc
	v_fma_f64 v[44:45], v[44:45], 2.0, -v[92:93]
	v_fma_f64 v[46:47], v[46:47], 2.0, -v[94:95]
	ds_write_b128 v0, v[28:31]
	ds_write_b128 v0, v[76:79] offset:32
	v_and_or_b32 v0, v109, s3, v125
	v_lshl_add_u32 v0, v0, 4, 0
	v_fma_f64 v[48:49], v[48:49], 2.0, -v[96:97]
	v_fma_f64 v[50:51], v[50:51], 2.0, -v[98:99]
	ds_write_b128 v0, v[32:35]
	ds_write_b128 v0, v[80:83] offset:32
	v_and_or_b32 v0, v107, s2, v125
	v_lshl_add_u32 v0, v0, 4, 0
	v_fma_f64 v[52:53], v[52:53], 2.0, -v[100:101]
	v_fma_f64 v[54:55], v[54:55], 2.0, -v[102:103]
	ds_write_b128 v0, v[36:39]
	ds_write_b128 v0, v[84:87] offset:32
	v_and_or_b32 v0, v105, s2, v125
	v_lshl_add_u32 v0, v0, 4, 0
	v_fma_f64 v[56:57], v[56:57], 2.0, -v[126:127]
	v_fma_f64 v[58:59], v[58:59], 2.0, -v[128:129]
	;; [unrolled: 1-line block ×3, first 2 shown]
	ds_write_b128 v0, v[40:43]
	ds_write_b128 v0, v[88:91] offset:32
	v_and_or_b32 v0, v110, s2, v125
	v_lshl_add_u32 v0, v0, 4, 0
	s_movk_i32 s2, 0x7fc
	ds_write_b128 v0, v[44:47]
	ds_write_b128 v0, v[92:95] offset:32
	v_and_or_b32 v0, v108, s2, v125
	v_lshl_add_u32 v0, v0, 4, 0
	s_movk_i32 s2, 0x4fc
	;; [unrolled: 5-line block ×3, first 2 shown]
	ds_write_b128 v0, v[52:55]
	ds_write_b128 v0, v[100:103] offset:32
	v_and_or_b32 v0, v104, s2, v125
	v_lshl_add_u32 v0, v0, 4, 0
	ds_write_b128 v0, v[56:59]
	ds_write_b128 v0, v[126:129] offset:32
	s_and_saveexec_b64 s[2:3], vcc
	s_cbranch_execz .LBB0_25
; %bb.24:
	s_movk_i32 s4, 0x57c
	v_and_or_b32 v0, v124, s4, v125
	v_lshl_add_u32 v0, v0, 4, 0
	ds_write_b128 v0, v[4:7]
	ds_write_b128 v0, v[8:11] offset:32
.LBB0_25:
	s_or_b64 exec, exec, s[2:3]
	s_waitcnt lgkmcnt(0)
	; wave barrier
	s_waitcnt lgkmcnt(0)
	ds_read_b128 v[12:15], v118
	ds_read_b128 v[16:19], v118 offset:896
	ds_read_b128 v[60:63], v118 offset:11200
	ds_read_b128 v[0:3], v118 offset:12096
	ds_read_b128 v[20:23], v118 offset:1792
	ds_read_b128 v[24:27], v118 offset:2688
	ds_read_b128 v[68:71], v118 offset:12992
	ds_read_b128 v[64:67], v118 offset:13888
	ds_read_b128 v[28:31], v118 offset:3584
	ds_read_b128 v[32:35], v118 offset:4480
	ds_read_b128 v[76:79], v118 offset:14784
	ds_read_b128 v[72:75], v118 offset:15680
	ds_read_b128 v[36:39], v118 offset:5376
	ds_read_b128 v[40:43], v118 offset:6272
	ds_read_b128 v[84:87], v118 offset:16576
	ds_read_b128 v[80:83], v118 offset:17472
	ds_read_b128 v[44:47], v118 offset:7168
	ds_read_b128 v[48:51], v118 offset:8064
	ds_read_b128 v[92:95], v118 offset:18368
	ds_read_b128 v[88:91], v118 offset:19264
	ds_read_b128 v[52:55], v118 offset:8960
	ds_read_b128 v[56:59], v118 offset:9856
	ds_read_b128 v[100:103], v118 offset:20160
	ds_read_b128 v[96:99], v118 offset:21056
	s_and_saveexec_b64 s[2:3], vcc
	s_cbranch_execz .LBB0_27
; %bb.26:
	ds_read_b128 v[4:7], v118 offset:10752
	ds_read_b128 v[8:11], v118 offset:21952
.LBB0_27:
	s_or_b64 exec, exec, s[2:3]
	v_and_b32_e32 v125, 3, v112
	v_lshlrev_b32_e32 v126, 4, v125
	global_load_dwordx4 v[126:129], v126, s[8:9] offset:32
	s_movk_i32 s2, 0x78
	s_movk_i32 s3, 0xf8
	v_and_or_b32 v122, v122, s2, v125
	v_and_or_b32 v123, v123, s3, v125
	v_lshl_add_u32 v178, v122, 4, 0
	v_lshl_add_u32 v179, v123, 4, 0
	s_movk_i32 s2, 0x1f8
	s_waitcnt lgkmcnt(0)
	; wave barrier
	s_waitcnt lgkmcnt(0)
	s_movk_i32 s3, 0x2f8
	s_waitcnt vmcnt(0)
	v_mul_f64 v[122:123], v[62:63], v[128:129]
	v_mul_f64 v[130:131], v[60:61], v[128:129]
	;; [unrolled: 1-line block ×26, first 2 shown]
	v_fma_f64 v[60:61], v[60:61], v[126:127], v[122:123]
	v_fma_f64 v[62:63], v[62:63], v[126:127], -v[130:131]
	v_fma_f64 v[0:1], v[0:1], v[126:127], v[132:133]
	v_fma_f64 v[2:3], v[2:3], v[126:127], -v[134:135]
	;; [unrolled: 2-line block ×13, first 2 shown]
	v_add_f64 v[8:9], v[12:13], -v[60:61]
	v_add_f64 v[10:11], v[14:15], -v[62:63]
	v_add_f64 v[60:61], v[16:17], -v[0:1]
	v_add_f64 v[62:63], v[18:19], -v[2:3]
	v_add_f64 v[64:65], v[20:21], -v[68:69]
	v_add_f64 v[66:67], v[22:23], -v[70:71]
	v_add_f64 v[68:69], v[24:25], -v[122:123]
	v_add_f64 v[70:71], v[26:27], -v[130:131]
	v_add_f64 v[72:73], v[28:29], -v[76:77]
	v_add_f64 v[74:75], v[30:31], -v[78:79]
	v_add_f64 v[76:77], v[32:33], -v[132:133]
	v_add_f64 v[78:79], v[34:35], -v[134:135]
	v_fma_f64 v[12:13], v[12:13], 2.0, -v[8:9]
	v_fma_f64 v[14:15], v[14:15], 2.0, -v[10:11]
	v_add_f64 v[80:81], v[36:37], -v[84:85]
	v_add_f64 v[82:83], v[38:39], -v[86:87]
	v_fma_f64 v[16:17], v[16:17], 2.0, -v[60:61]
	v_fma_f64 v[18:19], v[18:19], 2.0, -v[62:63]
	;; [unrolled: 1-line block ×4, first 2 shown]
	v_add_f64 v[84:85], v[40:41], -v[136:137]
	v_add_f64 v[86:87], v[42:43], -v[138:139]
	v_fma_f64 v[24:25], v[24:25], 2.0, -v[68:69]
	v_fma_f64 v[26:27], v[26:27], 2.0, -v[70:71]
	v_add_f64 v[88:89], v[44:45], -v[92:93]
	v_add_f64 v[90:91], v[46:47], -v[94:95]
	v_fma_f64 v[28:29], v[28:29], 2.0, -v[72:73]
	v_fma_f64 v[30:31], v[30:31], 2.0, -v[74:75]
	v_add_f64 v[92:93], v[48:49], -v[140:141]
	v_add_f64 v[94:95], v[50:51], -v[142:143]
	v_fma_f64 v[32:33], v[32:33], 2.0, -v[76:77]
	v_fma_f64 v[34:35], v[34:35], 2.0, -v[78:79]
	ds_write_b128 v178, v[8:11] offset:64
	ds_write_b128 v178, v[12:15]
	ds_write_b128 v179, v[16:19]
	ds_write_b128 v179, v[60:63] offset:64
	v_and_or_b32 v8, v117, s2, v125
	v_lshl_add_u32 v8, v8, 4, 0
	v_add_f64 v[96:97], v[52:53], -v[100:101]
	v_add_f64 v[98:99], v[54:55], -v[102:103]
	v_fma_f64 v[36:37], v[36:37], 2.0, -v[80:81]
	v_fma_f64 v[38:39], v[38:39], 2.0, -v[82:83]
	ds_write_b128 v8, v[20:23]
	ds_write_b128 v8, v[64:67] offset:64
	v_and_or_b32 v8, v116, s2, v125
	v_lshl_add_u32 v8, v8, 4, 0
	s_movk_i32 s2, 0x3f8
	v_add_f64 v[100:101], v[56:57], -v[144:145]
	v_add_f64 v[102:103], v[58:59], -v[146:147]
	v_fma_f64 v[40:41], v[40:41], 2.0, -v[84:85]
	v_fma_f64 v[42:43], v[42:43], 2.0, -v[86:87]
	ds_write_b128 v8, v[24:27]
	ds_write_b128 v8, v[68:71] offset:64
	v_and_or_b32 v8, v111, s2, v125
	v_lshl_add_u32 v8, v8, 4, 0
	v_fma_f64 v[44:45], v[44:45], 2.0, -v[88:89]
	v_fma_f64 v[46:47], v[46:47], 2.0, -v[90:91]
	ds_write_b128 v8, v[28:31]
	ds_write_b128 v8, v[72:75] offset:64
	v_and_or_b32 v8, v109, s3, v125
	v_lshl_add_u32 v8, v8, 4, 0
	;; [unrolled: 6-line block ×4, first 2 shown]
	v_add_f64 v[0:1], v[4:5], -v[148:149]
	v_add_f64 v[2:3], v[6:7], -v[126:127]
	v_fma_f64 v[56:57], v[56:57], 2.0, -v[100:101]
	v_fma_f64 v[58:59], v[58:59], 2.0, -v[102:103]
	ds_write_b128 v8, v[40:43]
	ds_write_b128 v8, v[84:87] offset:64
	v_and_or_b32 v8, v110, s2, v125
	v_lshl_add_u32 v8, v8, 4, 0
	s_movk_i32 s2, 0x7f8
	ds_write_b128 v8, v[44:47]
	ds_write_b128 v8, v[88:91] offset:64
	v_and_or_b32 v8, v108, s2, v125
	v_lshl_add_u32 v8, v8, 4, 0
	s_movk_i32 s2, 0x4f8
	;; [unrolled: 5-line block ×3, first 2 shown]
	ds_write_b128 v8, v[52:55]
	ds_write_b128 v8, v[96:99] offset:64
	v_and_or_b32 v8, v104, s2, v125
	v_lshl_add_u32 v8, v8, 4, 0
	ds_write_b128 v8, v[56:59]
	ds_write_b128 v8, v[100:103] offset:64
	s_and_saveexec_b64 s[2:3], vcc
	s_cbranch_execz .LBB0_29
; %bb.28:
	v_fma_f64 v[6:7], v[6:7], 2.0, -v[2:3]
	v_fma_f64 v[4:5], v[4:5], 2.0, -v[0:1]
	s_movk_i32 s4, 0x578
	v_and_or_b32 v8, v124, s4, v125
	v_lshl_add_u32 v8, v8, 4, 0
	ds_write_b128 v8, v[4:7]
	ds_write_b128 v8, v[0:3] offset:64
.LBB0_29:
	s_or_b64 exec, exec, s[2:3]
	v_and_b32_e32 v60, 7, v112
	v_lshlrev_b32_e32 v4, 6, v60
	s_waitcnt lgkmcnt(0)
	; wave barrier
	s_waitcnt lgkmcnt(0)
	global_load_dwordx4 v[16:19], v4, s[8:9] offset:96
	global_load_dwordx4 v[20:23], v4, s[8:9] offset:112
	;; [unrolled: 1-line block ×4, first 2 shown]
	ds_read_b128 v[32:35], v118
	ds_read_b128 v[61:64], v118 offset:896
	ds_read_b128 v[36:39], v118 offset:8960
	;; [unrolled: 1-line block ×24, first 2 shown]
	s_mov_b32 s2, 0x134454ff
	s_mov_b32 s3, 0xbfee6f0e
	;; [unrolled: 1-line block ×10, first 2 shown]
	s_waitcnt lgkmcnt(0)
	; wave barrier
	s_waitcnt lgkmcnt(0)
	v_cmp_gt_u32_e32 vcc, 32, v112
	s_waitcnt vmcnt(3)
	v_mul_f64 v[109:110], v[91:92], v[18:19]
	s_waitcnt vmcnt(2)
	v_mul_f64 v[134:135], v[38:39], v[22:23]
	;; [unrolled: 2-line block ×3, first 2 shown]
	v_mul_f64 v[116:117], v[89:90], v[18:19]
	v_mul_f64 v[136:137], v[36:37], v[22:23]
	;; [unrolled: 1-line block ×3, first 2 shown]
	s_waitcnt vmcnt(0)
	v_mul_f64 v[142:143], v[46:47], v[30:31]
	v_mul_f64 v[144:145], v[44:45], v[30:31]
	;; [unrolled: 1-line block ×6, first 2 shown]
	v_fma_f64 v[89:90], v[89:90], v[16:17], v[109:110]
	v_fma_f64 v[36:37], v[36:37], v[20:21], v[134:135]
	;; [unrolled: 1-line block ×3, first 2 shown]
	v_mul_f64 v[146:147], v[54:55], v[18:19]
	v_mul_f64 v[152:153], v[40:41], v[22:23]
	;; [unrolled: 1-line block ×16, first 2 shown]
	v_fma_f64 v[91:92], v[91:92], v[16:17], -v[116:117]
	v_fma_f64 v[38:39], v[38:39], v[20:21], -v[136:137]
	v_fma_f64 v[109:110], v[44:45], v[28:29], v[142:143]
	v_fma_f64 v[116:117], v[46:47], v[28:29], -v[144:145]
	v_fma_f64 v[136:137], v[54:55], v[16:17], -v[148:149]
	v_fma_f64 v[138:139], v[40:41], v[20:21], v[150:151]
	v_fma_f64 v[142:143], v[48:49], v[28:29], v[158:159]
	v_fma_f64 v[148:149], v[58:59], v[16:17], -v[164:165]
	v_mul_f64 v[40:41], v[99:100], v[18:19]
	v_mul_f64 v[18:19], v[97:98], v[18:19]
	;; [unrolled: 1-line block ×3, first 2 shown]
	v_add_f64 v[46:47], v[32:33], v[89:90]
	v_mul_f64 v[22:23], v[105:106], v[22:23]
	v_add_f64 v[48:49], v[36:37], v[101:102]
	v_mul_f64 v[58:59], v[128:129], v[26:27]
	v_mul_f64 v[26:27], v[126:127], v[26:27]
	v_fma_f64 v[103:104], v[103:104], v[24:25], -v[140:141]
	v_fma_f64 v[134:135], v[52:53], v[16:17], v[146:147]
	v_fma_f64 v[140:141], v[42:43], v[20:21], -v[152:153]
	v_fma_f64 v[65:66], v[65:66], v[24:25], v[154:155]
	v_fma_f64 v[67:68], v[67:68], v[24:25], -v[156:157]
	v_fma_f64 v[144:145], v[50:51], v[28:29], -v[160:161]
	v_fma_f64 v[146:147], v[56:57], v[16:17], v[162:163]
	v_fma_f64 v[150:151], v[73:74], v[20:21], v[166:167]
	;; [unrolled: 1-line block ×3, first 2 shown]
	v_fma_f64 v[156:157], v[71:72], v[24:25], -v[172:173]
	v_fma_f64 v[160:161], v[93:94], v[16:17], v[178:179]
	v_fma_f64 v[50:51], v[95:96], v[16:17], -v[180:181]
	v_fma_f64 v[164:165], v[122:123], v[24:25], v[186:187]
	;; [unrolled: 2-line block ×3, first 2 shown]
	v_fma_f64 v[18:19], v[99:100], v[16:17], -v[18:19]
	v_add_f64 v[69:70], v[46:47], v[36:37]
	v_fma_f64 v[40:41], v[107:108], v[20:21], -v[22:23]
	v_fma_f64 v[22:23], v[48:49], -0.5, v[32:33]
	v_add_f64 v[71:72], v[91:92], -v[116:117]
	v_fma_f64 v[46:47], v[126:127], v[24:25], v[58:59]
	v_fma_f64 v[16:17], v[128:129], v[24:25], -v[26:27]
	v_mul_f64 v[24:25], v[130:131], v[30:31]
	v_add_f64 v[73:74], v[89:90], v[109:110]
	v_mul_f64 v[174:175], v[83:84], v[30:31]
	v_mul_f64 v[176:177], v[81:82], v[30:31]
	;; [unrolled: 1-line block ×4, first 2 shown]
	v_fma_f64 v[152:153], v[75:76], v[20:21], -v[168:169]
	v_fma_f64 v[162:163], v[77:78], v[20:21], v[182:183]
	v_fma_f64 v[52:53], v[79:80], v[20:21], -v[184:185]
	v_fma_f64 v[44:45], v[105:106], v[20:21], v[44:45]
	v_mul_f64 v[20:21], v[132:133], v[30:31]
	v_add_f64 v[26:27], v[69:70], v[101:102]
	v_fma_f64 v[30:31], v[71:72], s[2:3], v[22:23]
	v_add_f64 v[69:70], v[38:39], -v[103:104]
	v_add_f64 v[75:76], v[89:90], -v[36:37]
	;; [unrolled: 1-line block ×3, first 2 shown]
	v_fma_f64 v[48:49], v[132:133], v[28:29], -v[24:25]
	v_fma_f64 v[24:25], v[73:74], -0.5, v[32:33]
	v_fma_f64 v[81:82], v[81:82], v[28:29], v[174:175]
	v_fma_f64 v[158:159], v[83:84], v[28:29], -v[176:177]
	v_fma_f64 v[122:123], v[85:86], v[28:29], v[190:191]
	v_fma_f64 v[56:57], v[87:88], v[28:29], -v[192:193]
	v_fma_f64 v[58:59], v[130:131], v[28:29], v[20:21]
	v_add_f64 v[20:21], v[26:27], v[109:110]
	v_fma_f64 v[26:27], v[69:70], s[4:5], v[30:31]
	v_add_f64 v[28:29], v[75:76], v[77:78]
	v_add_f64 v[30:31], v[38:39], v[103:104]
	v_fma_f64 v[22:23], v[71:72], s[6:7], v[22:23]
	v_fma_f64 v[32:33], v[69:70], s[6:7], v[24:25]
	v_add_f64 v[73:74], v[36:37], -v[89:90]
	v_add_f64 v[75:76], v[101:102], -v[109:110]
	v_fma_f64 v[24:25], v[69:70], s[2:3], v[24:25]
	v_add_f64 v[77:78], v[34:35], v[91:92]
	v_add_f64 v[79:80], v[89:90], -v[109:110]
	v_fma_f64 v[30:31], v[30:31], -0.5, v[34:35]
	v_fma_f64 v[22:23], v[69:70], s[10:11], v[22:23]
	v_fma_f64 v[32:33], v[71:72], s[4:5], v[32:33]
	v_add_f64 v[83:84], v[36:37], -v[101:102]
	v_add_f64 v[69:70], v[73:74], v[75:76]
	v_fma_f64 v[71:72], v[71:72], s[10:11], v[24:25]
	v_add_f64 v[75:76], v[91:92], v[116:117]
	v_add_f64 v[73:74], v[77:78], v[38:39]
	v_fma_f64 v[77:78], v[79:80], s[6:7], v[30:31]
	v_fma_f64 v[36:37], v[28:29], s[14:15], v[26:27]
	;; [unrolled: 1-line block ×6, first 2 shown]
	v_fma_f64 v[22:23], v[75:76], -0.5, v[34:35]
	v_add_f64 v[71:72], v[138:139], v[65:66]
	v_add_f64 v[26:27], v[73:74], v[103:104]
	v_fma_f64 v[34:35], v[83:84], s[10:11], v[77:78]
	v_add_f64 v[69:70], v[91:92], -v[38:39]
	v_add_f64 v[73:74], v[116:117], -v[103:104]
	;; [unrolled: 1-line block ×4, first 2 shown]
	v_fma_f64 v[75:76], v[83:84], s[2:3], v[22:23]
	v_fma_f64 v[22:23], v[83:84], s[6:7], v[22:23]
	v_add_f64 v[85:86], v[61:62], v[134:135]
	v_fma_f64 v[71:72], v[71:72], -0.5, v[61:62]
	v_add_f64 v[87:88], v[136:137], -v[144:145]
	v_add_f64 v[69:70], v[69:70], v[73:74]
	v_fma_f64 v[30:31], v[83:84], s[4:5], v[30:31]
	v_add_f64 v[89:90], v[140:141], -v[67:68]
	v_fma_f64 v[73:74], v[79:80], s[10:11], v[75:76]
	v_add_f64 v[75:76], v[38:39], v[77:78]
	v_fma_f64 v[77:78], v[79:80], s[4:5], v[22:23]
	v_add_f64 v[79:80], v[134:135], v[142:143]
	v_add_f64 v[83:84], v[85:86], v[138:139]
	v_fma_f64 v[85:86], v[87:88], s[2:3], v[71:72]
	v_add_f64 v[22:23], v[26:27], v[116:117]
	v_fma_f64 v[38:39], v[69:70], s[14:15], v[34:35]
	v_fma_f64 v[26:27], v[69:70], s[14:15], v[30:31]
	;; [unrolled: 1-line block ×4, first 2 shown]
	v_fma_f64 v[61:62], v[79:80], -0.5, v[61:62]
	v_add_f64 v[75:76], v[134:135], -v[138:139]
	v_fma_f64 v[73:74], v[89:90], s[4:5], v[85:86]
	v_add_f64 v[77:78], v[140:141], v[67:68]
	v_add_f64 v[79:80], v[142:143], -v[65:66]
	v_add_f64 v[85:86], v[138:139], -v[134:135]
	;; [unrolled: 1-line block ×3, first 2 shown]
	v_add_f64 v[69:70], v[83:84], v[65:66]
	v_fma_f64 v[71:72], v[87:88], s[6:7], v[71:72]
	v_fma_f64 v[83:84], v[89:90], s[6:7], v[61:62]
	v_fma_f64 v[61:62], v[89:90], s[2:3], v[61:62]
	v_add_f64 v[93:94], v[63:64], v[136:137]
	v_fma_f64 v[95:96], v[77:78], -0.5, v[63:64]
	v_add_f64 v[97:98], v[134:135], -v[142:143]
	v_add_f64 v[75:76], v[75:76], v[79:80]
	v_add_f64 v[79:80], v[85:86], v[91:92]
	;; [unrolled: 1-line block ×3, first 2 shown]
	v_fma_f64 v[71:72], v[89:90], s[10:11], v[71:72]
	v_fma_f64 v[77:78], v[87:88], s[4:5], v[83:84]
	;; [unrolled: 1-line block ×3, first 2 shown]
	v_add_f64 v[87:88], v[93:94], v[140:141]
	v_fma_f64 v[89:90], v[97:98], s[6:7], v[95:96]
	v_add_f64 v[91:92], v[138:139], -v[65:66]
	v_add_f64 v[61:62], v[69:70], v[142:143]
	v_fma_f64 v[63:64], v[85:86], -0.5, v[63:64]
	v_fma_f64 v[65:66], v[75:76], s[14:15], v[73:74]
	v_fma_f64 v[69:70], v[75:76], s[14:15], v[71:72]
	v_fma_f64 v[73:74], v[79:80], s[14:15], v[77:78]
	v_fma_f64 v[77:78], v[79:80], s[14:15], v[83:84]
	v_add_f64 v[71:72], v[87:88], v[67:68]
	v_fma_f64 v[75:76], v[91:92], s[10:11], v[89:90]
	v_add_f64 v[79:80], v[136:137], -v[140:141]
	v_add_f64 v[83:84], v[150:151], v[154:155]
	v_add_f64 v[85:86], v[144:145], -v[67:68]
	v_fma_f64 v[87:88], v[97:98], s[2:3], v[95:96]
	v_fma_f64 v[89:90], v[91:92], s[2:3], v[63:64]
	v_add_f64 v[93:94], v[140:141], -v[136:137]
	v_add_f64 v[67:68], v[67:68], -v[144:145]
	v_add_f64 v[95:96], v[12:13], v[146:147]
	v_fma_f64 v[63:64], v[91:92], s[6:7], v[63:64]
	v_fma_f64 v[83:84], v[83:84], -0.5, v[12:13]
	v_add_f64 v[99:100], v[148:149], -v[158:159]
	v_add_f64 v[79:80], v[79:80], v[85:86]
	v_fma_f64 v[85:86], v[91:92], s[4:5], v[87:88]
	v_fma_f64 v[87:88], v[97:98], s[10:11], v[89:90]
	v_add_f64 v[89:90], v[93:94], v[67:68]
	v_add_f64 v[93:94], v[95:96], v[150:151]
	;; [unrolled: 1-line block ×3, first 2 shown]
	v_fma_f64 v[91:92], v[97:98], s[4:5], v[63:64]
	v_fma_f64 v[97:98], v[99:100], s[2:3], v[83:84]
	v_add_f64 v[101:102], v[152:153], -v[156:157]
	v_add_f64 v[63:64], v[71:72], v[144:145]
	v_fma_f64 v[67:68], v[79:80], s[14:15], v[75:76]
	v_fma_f64 v[71:72], v[79:80], s[14:15], v[85:86]
	;; [unrolled: 1-line block ×3, first 2 shown]
	v_fma_f64 v[12:13], v[95:96], -0.5, v[12:13]
	v_fma_f64 v[79:80], v[89:90], s[14:15], v[91:92]
	v_add_f64 v[85:86], v[93:94], v[154:155]
	v_fma_f64 v[87:88], v[101:102], s[4:5], v[97:98]
	v_add_f64 v[89:90], v[146:147], -v[150:151]
	v_add_f64 v[91:92], v[14:15], v[148:149]
	v_add_f64 v[93:94], v[152:153], v[156:157]
	v_add_f64 v[95:96], v[81:82], -v[154:155]
	v_fma_f64 v[97:98], v[101:102], s[6:7], v[12:13]
	v_add_f64 v[103:104], v[150:151], -v[146:147]
	v_add_f64 v[105:106], v[154:155], -v[81:82]
	v_fma_f64 v[12:13], v[101:102], s[2:3], v[12:13]
	v_fma_f64 v[83:84], v[99:100], s[6:7], v[83:84]
	v_add_f64 v[91:92], v[91:92], v[152:153]
	v_fma_f64 v[107:108], v[93:94], -0.5, v[14:15]
	v_add_f64 v[109:110], v[146:147], -v[81:82]
	v_add_f64 v[89:90], v[89:90], v[95:96]
	v_fma_f64 v[93:94], v[99:100], s[4:5], v[97:98]
	v_add_f64 v[95:96], v[103:104], v[105:106]
	v_fma_f64 v[12:13], v[99:100], s[10:11], v[12:13]
	;; [unrolled: 2-line block ×4, first 2 shown]
	v_add_f64 v[103:104], v[150:151], -v[154:155]
	v_add_f64 v[81:82], v[85:86], v[81:82]
	v_fma_f64 v[85:86], v[89:90], s[14:15], v[87:88]
	v_fma_f64 v[97:98], v[95:96], s[14:15], v[12:13]
	v_fma_f64 v[12:13], v[99:100], -0.5, v[14:15]
	v_fma_f64 v[89:90], v[89:90], s[14:15], v[83:84]
	v_fma_f64 v[93:94], v[95:96], s[14:15], v[93:94]
	v_add_f64 v[83:84], v[91:92], v[158:159]
	v_fma_f64 v[14:15], v[103:104], s[10:11], v[101:102]
	v_add_f64 v[87:88], v[148:149], -v[152:153]
	v_add_f64 v[91:92], v[158:159], -v[156:157]
	v_add_f64 v[95:96], v[8:9], v[160:161]
	v_fma_f64 v[99:100], v[109:110], s[2:3], v[107:108]
	v_add_f64 v[101:102], v[162:163], v[164:165]
	v_fma_f64 v[105:106], v[103:104], s[2:3], v[12:13]
	v_add_f64 v[107:108], v[152:153], -v[148:149]
	v_add_f64 v[116:117], v[156:157], -v[158:159]
	v_fma_f64 v[12:13], v[103:104], s[6:7], v[12:13]
	v_add_f64 v[91:92], v[87:88], v[91:92]
	v_add_f64 v[87:88], v[95:96], v[162:163]
	v_fma_f64 v[95:96], v[103:104], s[4:5], v[99:100]
	v_fma_f64 v[103:104], v[101:102], -0.5, v[8:9]
	v_add_f64 v[124:125], v[50:51], -v[56:57]
	v_fma_f64 v[99:100], v[109:110], s[10:11], v[105:106]
	v_add_f64 v[101:102], v[107:108], v[116:117]
	v_fma_f64 v[12:13], v[109:110], s[4:5], v[12:13]
	v_add_f64 v[105:106], v[160:161], v[122:123]
	v_add_f64 v[107:108], v[87:88], v[164:165]
	v_fma_f64 v[87:88], v[91:92], s[14:15], v[14:15]
	v_fma_f64 v[91:92], v[91:92], s[14:15], v[95:96]
	;; [unrolled: 1-line block ×3, first 2 shown]
	v_add_f64 v[109:110], v[52:53], -v[54:55]
	v_fma_f64 v[95:96], v[101:102], s[14:15], v[99:100]
	v_fma_f64 v[99:100], v[101:102], s[14:15], v[12:13]
	v_fma_f64 v[8:9], v[105:106], -0.5, v[8:9]
	v_add_f64 v[12:13], v[160:161], -v[162:163]
	v_add_f64 v[105:106], v[122:123], -v[164:165]
	v_add_f64 v[101:102], v[107:108], v[122:123]
	v_fma_f64 v[103:104], v[124:125], s[6:7], v[103:104]
	v_fma_f64 v[14:15], v[109:110], s[4:5], v[14:15]
	v_add_f64 v[107:108], v[10:11], v[50:51]
	v_add_f64 v[116:117], v[52:53], v[54:55]
	v_fma_f64 v[126:127], v[109:110], s[6:7], v[8:9]
	v_add_f64 v[128:129], v[162:163], -v[160:161]
	v_add_f64 v[130:131], v[164:165], -v[122:123]
	v_add_f64 v[12:13], v[12:13], v[105:106]
	v_fma_f64 v[8:9], v[109:110], s[2:3], v[8:9]
	v_fma_f64 v[103:104], v[109:110], s[10:11], v[103:104]
	v_add_f64 v[107:108], v[107:108], v[52:53]
	v_fma_f64 v[109:110], v[116:117], -0.5, v[10:11]
	v_add_f64 v[116:117], v[160:161], -v[122:123]
	v_fma_f64 v[126:127], v[124:125], s[4:5], v[126:127]
	v_add_f64 v[128:129], v[128:129], v[130:131]
	v_fma_f64 v[105:106], v[12:13], s[14:15], v[14:15]
	v_fma_f64 v[8:9], v[124:125], s[10:11], v[8:9]
	v_add_f64 v[14:15], v[50:51], v[56:57]
	v_fma_f64 v[122:123], v[12:13], s[14:15], v[103:104]
	v_add_f64 v[12:13], v[107:108], v[54:55]
	v_fma_f64 v[107:108], v[116:117], s[6:7], v[109:110]
	v_add_f64 v[124:125], v[162:163], -v[164:165]
	v_add_f64 v[132:133], v[44:45], v[46:47]
	v_add_f64 v[134:135], v[50:51], -v[52:53]
	v_fma_f64 v[130:131], v[128:129], s[14:15], v[8:9]
	v_fma_f64 v[8:9], v[14:15], -0.5, v[10:11]
	v_add_f64 v[136:137], v[56:57], -v[54:55]
	v_add_f64 v[138:139], v[18:19], -v[48:49]
	;; [unrolled: 1-line block ×3, first 2 shown]
	v_fma_f64 v[10:11], v[124:125], s[10:11], v[107:108]
	v_fma_f64 v[14:15], v[132:133], -0.5, v[4:5]
	v_fma_f64 v[107:108], v[116:117], s[2:3], v[109:110]
	v_add_f64 v[52:53], v[54:55], -v[56:57]
	v_fma_f64 v[109:110], v[124:125], s[2:3], v[8:9]
	v_fma_f64 v[8:9], v[124:125], s[6:7], v[8:9]
	;; [unrolled: 1-line block ×3, first 2 shown]
	v_add_f64 v[103:104], v[12:13], v[56:57]
	v_add_f64 v[12:13], v[4:5], v[42:43]
	;; [unrolled: 1-line block ×3, first 2 shown]
	v_fma_f64 v[54:55], v[138:139], s[2:3], v[14:15]
	v_add_f64 v[56:57], v[40:41], -v[16:17]
	v_add_f64 v[132:133], v[42:43], -v[44:45]
	;; [unrolled: 1-line block ×3, first 2 shown]
	v_fma_f64 v[124:125], v[124:125], s[4:5], v[107:108]
	v_fma_f64 v[109:110], v[116:117], s[10:11], v[109:110]
	v_add_f64 v[50:51], v[50:51], v[52:53]
	v_fma_f64 v[8:9], v[116:117], s[4:5], v[8:9]
	v_add_f64 v[12:13], v[12:13], v[44:45]
	v_add_f64 v[136:137], v[42:43], v[58:59]
	v_fma_f64 v[52:53], v[56:57], s[4:5], v[54:55]
	v_add_f64 v[54:55], v[132:133], v[134:135]
	v_fma_f64 v[107:108], v[128:129], s[14:15], v[10:11]
	v_fma_f64 v[124:125], v[128:129], s[14:15], v[124:125]
	;; [unrolled: 1-line block ×4, first 2 shown]
	v_add_f64 v[8:9], v[40:41], v[16:17]
	v_add_f64 v[109:110], v[18:19], v[48:49]
	;; [unrolled: 1-line block ×3, first 2 shown]
	v_fma_f64 v[10:11], v[136:137], -0.5, v[4:5]
	v_fma_f64 v[4:5], v[54:55], s[14:15], v[52:53]
	v_add_f64 v[52:53], v[44:45], -v[42:43]
	v_add_f64 v[116:117], v[46:47], -v[58:59]
	v_add_f64 v[134:135], v[6:7], v[18:19]
	v_fma_f64 v[8:9], v[8:9], -0.5, v[6:7]
	v_add_f64 v[44:45], v[44:45], -v[46:47]
	v_fma_f64 v[6:7], v[109:110], -0.5, v[6:7]
	v_add_f64 v[50:51], v[12:13], v[58:59]
	v_fma_f64 v[12:13], v[138:139], s[6:7], v[14:15]
	v_fma_f64 v[14:15], v[56:57], s[6:7], v[10:11]
	v_add_f64 v[42:43], v[42:43], -v[58:59]
	v_add_f64 v[46:47], v[52:53], v[116:117]
	v_fma_f64 v[10:11], v[56:57], s[2:3], v[10:11]
	v_add_f64 v[52:53], v[134:135], v[40:41]
	v_add_f64 v[58:59], v[18:19], -v[40:41]
	v_add_f64 v[109:110], v[48:49], -v[16:17]
	v_fma_f64 v[116:117], v[44:45], s[2:3], v[6:7]
	v_add_f64 v[18:19], v[40:41], -v[18:19]
	v_add_f64 v[40:41], v[16:17], -v[48:49]
	v_fma_f64 v[6:7], v[44:45], s[6:7], v[6:7]
	v_fma_f64 v[12:13], v[56:57], s[10:11], v[12:13]
	;; [unrolled: 1-line block ×6, first 2 shown]
	v_add_f64 v[58:59], v[58:59], v[109:110]
	v_fma_f64 v[109:110], v[42:43], s[10:11], v[116:117]
	v_add_f64 v[40:41], v[18:19], v[40:41]
	v_fma_f64 v[42:43], v[42:43], s[4:5], v[6:7]
	;; [unrolled: 2-line block ×3, first 2 shown]
	v_fma_f64 v[44:45], v[44:45], s[4:5], v[8:9]
	v_fma_f64 v[16:17], v[54:55], s[14:15], v[12:13]
	;; [unrolled: 1-line block ×6, first 2 shown]
	v_lshrrev_b32_e32 v40, 3, v112
	v_mul_u32_u24_e32 v40, 40, v40
	v_or_b32_e32 v40, v40, v60
	v_lshl_add_u32 v40, v40, 4, 0
	ds_write_b128 v40, v[20:23]
	ds_write_b128 v40, v[36:39] offset:128
	ds_write_b128 v40, v[32:35] offset:256
	;; [unrolled: 1-line block ×4, first 2 shown]
	v_lshrrev_b32_e32 v20, 3, v121
	v_mul_u32_u24_e32 v20, 40, v20
	v_or_b32_e32 v20, v20, v60
	v_lshl_add_u32 v20, v20, 4, 0
	ds_write_b128 v20, v[61:64]
	ds_write_b128 v20, v[65:68] offset:128
	ds_write_b128 v20, v[73:76] offset:256
	;; [unrolled: 1-line block ×4, first 2 shown]
	v_lshrrev_b32_e32 v20, 3, v120
	v_mul_u32_u24_e32 v20, 40, v20
	v_or_b32_e32 v20, v20, v60
	v_lshl_add_u32 v20, v20, 4, 0
	v_add_f64 v[52:53], v[52:53], v[48:49]
	ds_write_b128 v20, v[81:84]
	ds_write_b128 v20, v[85:88] offset:128
	ds_write_b128 v20, v[93:96] offset:256
	;; [unrolled: 1-line block ×4, first 2 shown]
	v_lshrrev_b32_e32 v20, 3, v119
	v_fma_f64 v[6:7], v[58:59], s[14:15], v[56:57]
	v_mul_u32_u24_e32 v20, 40, v20
	v_or_b32_e32 v20, v20, v60
	v_lshl_add_u32 v20, v20, 4, 0
	v_fma_f64 v[18:19], v[58:59], s[14:15], v[44:45]
	ds_write_b128 v20, v[101:104]
	ds_write_b128 v20, v[105:108] offset:128
	ds_write_b128 v20, v[126:129] offset:256
	;; [unrolled: 1-line block ×4, first 2 shown]
	v_lshrrev_b32_e32 v20, 3, v113
	v_mul_u32_u24_e32 v20, 40, v20
	v_or_b32_e32 v20, v20, v60
	v_lshl_add_u32 v20, v20, 4, 0
	ds_write_b128 v20, v[50:53]
	ds_write_b128 v20, v[4:7] offset:128
	ds_write_b128 v20, v[8:11] offset:256
	;; [unrolled: 1-line block ×4, first 2 shown]
	s_waitcnt lgkmcnt(0)
	; wave barrier
	s_waitcnt lgkmcnt(0)
	ds_read_b128 v[40:43], v118
	ds_read_b128 v[32:35], v118 offset:896
	ds_read_b128 v[84:87], v118 offset:6400
	;; [unrolled: 1-line block ×20, first 2 shown]
                                        ; implicit-def: $vgpr26_vgpr27
                                        ; implicit-def: $vgpr22_vgpr23
	s_and_saveexec_b64 s[2:3], vcc
	s_cbranch_execz .LBB0_31
; %bb.30:
	ds_read_b128 v[4:7], v118 offset:2688
	ds_read_b128 v[8:11], v118 offset:5888
	;; [unrolled: 1-line block ×7, first 2 shown]
.LBB0_31:
	s_or_b64 exec, exec, s[2:3]
	v_subrev_u32_e32 v116, 40, v112
	v_cmp_gt_u32_e64 s[2:3], 40, v112
	v_cndmask_b32_e64 v122, v116, v112, s[2:3]
	v_mul_i32_i24_e32 v116, 6, v122
	v_mov_b32_e32 v117, 0
	v_lshlrev_b64 v[123:124], 4, v[116:117]
	v_mov_b32_e32 v116, s9
	v_add_co_u32_e64 v123, s[2:3], s8, v123
	s_movk_i32 s28, 0xcd
	v_addc_co_u32_e64 v124, s[2:3], v116, v124, s[2:3]
	v_mul_lo_u16_sdwa v116, v121, s28 dst_sel:DWORD dst_unused:UNUSED_PAD src0_sel:BYTE_0 src1_sel:DWORD
	v_lshrrev_b16_e32 v116, 13, v116
	global_load_dwordx4 v[126:129], v[123:124], off offset:624
	global_load_dwordx4 v[130:133], v[123:124], off offset:608
	;; [unrolled: 1-line block ×6, first 2 shown]
	v_mul_lo_u16_e32 v123, 40, v116
	v_sub_u16_e32 v123, v121, v123
	v_mov_b32_e32 v174, 6
	v_mul_u32_u24_sdwa v124, v123, v174 dst_sel:DWORD dst_unused:UNUSED_PAD src0_sel:BYTE_0 src1_sel:DWORD
	v_lshlrev_b32_e32 v124, 4, v124
	global_load_dwordx4 v[150:153], v124, s[8:9] offset:608
	global_load_dwordx4 v[154:157], v124, s[8:9] offset:624
	;; [unrolled: 1-line block ×6, first 2 shown]
	v_mul_lo_u16_sdwa v124, v120, s28 dst_sel:DWORD dst_unused:UNUSED_PAD src0_sel:BYTE_0 src1_sel:DWORD
	v_lshrrev_b16_e32 v124, 13, v124
	v_mul_lo_u16_e32 v125, 40, v124
	v_sub_u16_e32 v125, v120, v125
	v_mul_u32_u24_sdwa v174, v125, v174 dst_sel:DWORD dst_unused:UNUSED_PAD src0_sel:BYTE_0 src1_sel:DWORD
	v_lshlrev_b32_e32 v194, 4, v174
	global_load_dwordx4 v[174:177], v194, s[8:9] offset:608
	global_load_dwordx4 v[178:181], v194, s[8:9] offset:624
	;; [unrolled: 1-line block ×5, first 2 shown]
	s_nop 0
	global_load_dwordx4 v[194:197], v194, s[8:9] offset:688
	s_mov_b32 s10, 0x37e14327
	s_mov_b32 s14, 0x36b3c0b5
	;; [unrolled: 1-line block ×20, first 2 shown]
	v_cmp_lt_u32_e64 s[2:3], 39, v112
	v_lshlrev_b32_e32 v122, 4, v122
	s_waitcnt lgkmcnt(0)
	; wave barrier
	s_waitcnt vmcnt(17) lgkmcnt(0)
	v_mul_f64 v[200:201], v[86:87], v[128:129]
	s_waitcnt vmcnt(16)
	v_mul_f64 v[198:199], v[102:103], v[132:133]
	v_mul_f64 v[132:133], v[100:101], v[132:133]
	;; [unrolled: 1-line block ×3, first 2 shown]
	s_waitcnt vmcnt(14)
	v_mul_f64 v[202:203], v[106:107], v[140:141]
	v_mul_f64 v[140:141], v[104:105], v[140:141]
	;; [unrolled: 1-line block ×4, first 2 shown]
	s_waitcnt vmcnt(12)
	v_mul_f64 v[206:207], v[110:111], v[148:149]
	v_mul_f64 v[148:149], v[108:109], v[148:149]
	;; [unrolled: 1-line block ×4, first 2 shown]
	v_fma_f64 v[100:101], v[100:101], v[130:131], v[198:199]
	s_waitcnt vmcnt(5)
	v_mul_f64 v[222:223], v[74:75], v[176:177]
	v_mul_f64 v[176:177], v[72:73], v[176:177]
	v_fma_f64 v[102:103], v[102:103], v[130:131], -v[132:133]
	v_fma_f64 v[84:85], v[84:85], v[126:127], v[200:201]
	v_fma_f64 v[86:87], v[86:87], v[126:127], -v[128:129]
	v_fma_f64 v[104:105], v[104:105], v[138:139], v[202:203]
	v_fma_f64 v[106:107], v[106:107], v[138:139], -v[140:141]
	v_fma_f64 v[82:83], v[82:83], v[134:135], -v[136:137]
	v_fma_f64 v[108:109], v[108:109], v[146:147], v[206:207]
	v_fma_f64 v[110:111], v[110:111], v[146:147], -v[148:149]
	v_fma_f64 v[76:77], v[76:77], v[142:143], v[208:209]
	v_fma_f64 v[78:79], v[78:79], v[142:143], -v[144:145]
	v_fma_f64 v[128:129], v[74:75], v[174:175], -v[176:177]
	s_waitcnt vmcnt(3)
	v_mul_f64 v[74:75], v[50:51], v[184:185]
	v_mul_f64 v[130:131], v[48:49], v[184:185]
	s_waitcnt vmcnt(1)
	v_mul_f64 v[136:137], v[58:59], v[192:193]
	v_mul_f64 v[138:139], v[56:57], v[192:193]
	v_fma_f64 v[80:81], v[80:81], v[134:135], v[204:205]
	v_fma_f64 v[126:127], v[72:73], v[174:175], v[222:223]
	v_mul_f64 v[72:73], v[44:45], v[180:181]
	v_mul_f64 v[132:133], v[54:55], v[188:189]
	;; [unrolled: 1-line block ×3, first 2 shown]
	v_fma_f64 v[144:145], v[48:49], v[182:183], v[74:75]
	v_fma_f64 v[130:131], v[50:51], v[182:183], -v[130:131]
	v_fma_f64 v[136:137], v[56:57], v[190:191], v[136:137]
	v_fma_f64 v[138:139], v[58:59], v[190:191], -v[138:139]
	v_add_f64 v[48:49], v[100:101], v[76:77]
	v_add_f64 v[50:51], v[102:103], v[78:79]
	;; [unrolled: 1-line block ×4, first 2 shown]
	v_fma_f64 v[142:143], v[46:47], v[178:179], -v[72:73]
	v_fma_f64 v[132:133], v[52:53], v[186:187], v[132:133]
	v_fma_f64 v[134:135], v[54:55], v[186:187], -v[134:135]
	v_add_f64 v[52:53], v[100:101], -v[76:77]
	v_add_f64 v[54:55], v[102:103], -v[78:79]
	;; [unrolled: 1-line block ×4, first 2 shown]
	v_add_f64 v[76:77], v[104:105], v[80:81]
	v_add_f64 v[78:79], v[106:107], v[82:83]
	v_add_f64 v[80:81], v[80:81], -v[104:105]
	v_add_f64 v[82:83], v[82:83], -v[106:107]
	v_add_f64 v[84:85], v[56:57], v[48:49]
	v_add_f64 v[86:87], v[58:59], v[50:51]
	v_add_f64 v[100:101], v[56:57], -v[48:49]
	v_add_f64 v[102:103], v[58:59], -v[50:51]
	v_add_f64 v[48:49], v[48:49], -v[76:77]
	v_add_f64 v[50:51], v[50:51], -v[78:79]
	v_add_f64 v[56:57], v[76:77], -v[56:57]
	v_add_f64 v[58:59], v[78:79], -v[58:59]
	v_add_f64 v[104:105], v[80:81], v[72:73]
	v_add_f64 v[106:107], v[82:83], v[74:75]
	v_add_f64 v[108:109], v[80:81], -v[72:73]
	v_add_f64 v[110:111], v[82:83], -v[74:75]
	v_add_f64 v[76:77], v[76:77], v[84:85]
	v_add_f64 v[78:79], v[78:79], v[86:87]
	v_add_f64 v[72:73], v[72:73], -v[52:53]
	v_add_f64 v[74:75], v[74:75], -v[54:55]
	;; [unrolled: 1-line block ×4, first 2 shown]
	v_add_f64 v[52:53], v[104:105], v[52:53]
	v_add_f64 v[54:55], v[106:107], v[54:55]
	;; [unrolled: 1-line block ×4, first 2 shown]
	v_mul_f64 v[48:49], v[48:49], s[10:11]
	v_mul_f64 v[50:51], v[50:51], s[10:11]
	;; [unrolled: 1-line block ×17, first 2 shown]
	v_fma_f64 v[76:77], v[76:77], s[6:7], v[40:41]
	v_fma_f64 v[78:79], v[78:79], s[6:7], v[42:43]
	;; [unrolled: 1-line block ×4, first 2 shown]
	v_fma_f64 v[84:85], v[100:101], s[16:17], -v[84:85]
	v_fma_f64 v[86:87], v[102:103], s[16:17], -v[86:87]
	;; [unrolled: 1-line block ×4, first 2 shown]
	v_fma_f64 v[100:101], v[80:81], s[24:25], v[104:105]
	v_fma_f64 v[102:103], v[82:83], s[24:25], v[106:107]
	v_fma_f64 v[72:73], v[72:73], s[4:5], -v[104:105]
	v_fma_f64 v[74:75], v[74:75], s[4:5], -v[106:107]
	;; [unrolled: 1-line block ×4, first 2 shown]
	v_mul_f64 v[214:215], v[94:95], v[164:165]
	v_mul_f64 v[164:165], v[92:93], v[164:165]
	;; [unrolled: 1-line block ×4, first 2 shown]
	v_fma_f64 v[88:89], v[88:89], v[150:151], v[210:211]
	v_fma_f64 v[90:91], v[90:91], v[150:151], -v[152:153]
	v_fma_f64 v[68:69], v[68:69], v[154:155], v[212:213]
	v_fma_f64 v[70:71], v[70:71], v[154:155], -v[156:157]
	;; [unrolled: 2-line block ×4, first 2 shown]
	v_fma_f64 v[140:141], v[44:45], v[178:179], v[224:225]
	s_waitcnt vmcnt(0)
	v_mul_f64 v[44:45], v[38:39], v[196:197]
	v_mul_f64 v[46:47], v[36:37], v[196:197]
	v_add_f64 v[104:105], v[56:57], v[76:77]
	v_add_f64 v[106:107], v[58:59], v[78:79]
	;; [unrolled: 1-line block ×6, first 2 shown]
	v_fma_f64 v[84:85], v[54:55], s[20:21], v[102:103]
	v_fma_f64 v[82:83], v[54:55], s[20:21], v[82:83]
	;; [unrolled: 1-line block ×6, first 2 shown]
	v_fma_f64 v[94:95], v[94:95], v[162:163], -v[164:165]
	v_fma_f64 v[64:65], v[64:65], v[158:159], v[216:217]
	v_fma_f64 v[66:67], v[66:67], v[158:159], -v[160:161]
	v_fma_f64 v[86:87], v[52:53], s[20:21], v[100:101]
	v_fma_f64 v[100:101], v[36:37], v[194:195], v[44:45]
	v_fma_f64 v[102:103], v[38:39], v[194:195], -v[46:47]
	v_add_f64 v[44:45], v[82:83], v[76:77]
	v_add_f64 v[46:47], v[78:79], -v[80:81]
	v_add_f64 v[48:49], v[56:57], -v[54:55]
	v_add_f64 v[50:51], v[72:73], v[58:59]
	v_add_f64 v[52:53], v[54:55], v[56:57]
	v_add_f64 v[54:55], v[58:59], -v[72:73]
	v_add_f64 v[56:57], v[76:77], -v[82:83]
	v_add_f64 v[58:59], v[80:81], v[78:79]
	v_add_f64 v[72:73], v[88:89], v[60:61]
	;; [unrolled: 1-line block ×5, first 2 shown]
	v_add_f64 v[60:61], v[88:89], -v[60:61]
	v_add_f64 v[62:63], v[90:91], -v[62:63]
	;; [unrolled: 1-line block ×4, first 2 shown]
	v_add_f64 v[80:81], v[92:93], v[64:65]
	v_add_f64 v[82:83], v[94:95], v[66:67]
	v_add_f64 v[64:65], v[64:65], -v[92:93]
	v_add_f64 v[66:67], v[66:67], -v[94:95]
	v_add_f64 v[88:89], v[76:77], v[72:73]
	v_add_f64 v[90:91], v[78:79], v[74:75]
	v_add_f64 v[92:93], v[76:77], -v[72:73]
	v_add_f64 v[94:95], v[78:79], -v[74:75]
	;; [unrolled: 1-line block ×6, first 2 shown]
	v_add_f64 v[96:97], v[64:65], v[68:69]
	v_add_f64 v[98:99], v[66:67], v[70:71]
	v_add_f64 v[108:109], v[64:65], -v[68:69]
	v_add_f64 v[110:111], v[66:67], -v[70:71]
	v_add_f64 v[80:81], v[80:81], v[88:89]
	v_add_f64 v[82:83], v[82:83], v[90:91]
	v_add_f64 v[68:69], v[68:69], -v[60:61]
	v_add_f64 v[70:71], v[70:71], -v[62:63]
	;; [unrolled: 1-line block ×4, first 2 shown]
	v_add_f64 v[60:61], v[96:97], v[60:61]
	v_add_f64 v[62:63], v[98:99], v[62:63]
	;; [unrolled: 1-line block ×4, first 2 shown]
	v_mul_f64 v[72:73], v[72:73], s[10:11]
	v_mul_f64 v[74:75], v[74:75], s[10:11]
	;; [unrolled: 1-line block ×8, first 2 shown]
	v_fma_f64 v[80:81], v[80:81], s[6:7], v[32:33]
	v_fma_f64 v[82:83], v[82:83], s[6:7], v[34:35]
	;; [unrolled: 1-line block ×4, first 2 shown]
	v_fma_f64 v[88:89], v[92:93], s[16:17], -v[88:89]
	v_fma_f64 v[90:91], v[94:95], s[16:17], -v[90:91]
	v_fma_f64 v[72:73], v[92:93], s[22:23], -v[72:73]
	v_fma_f64 v[74:75], v[94:95], s[22:23], -v[74:75]
	v_fma_f64 v[92:93], v[64:65], s[24:25], v[96:97]
	v_fma_f64 v[94:95], v[66:67], s[24:25], v[98:99]
	v_fma_f64 v[64:65], v[64:65], s[26:27], -v[108:109]
	v_fma_f64 v[66:67], v[66:67], s[26:27], -v[110:111]
	;; [unrolled: 1-line block ×4, first 2 shown]
	v_add_f64 v[96:97], v[76:77], v[80:81]
	v_add_f64 v[98:99], v[78:79], v[82:83]
	;; [unrolled: 1-line block ×6, first 2 shown]
	v_fma_f64 v[88:89], v[62:63], s[20:21], v[94:95]
	v_fma_f64 v[90:91], v[60:61], s[20:21], v[92:93]
	v_fma_f64 v[92:93], v[62:63], s[20:21], v[66:67]
	v_fma_f64 v[94:95], v[60:61], s[20:21], v[64:65]
	v_add_f64 v[36:37], v[84:85], v[104:105]
	v_add_f64 v[38:39], v[106:107], -v[86:87]
	v_fma_f64 v[108:109], v[62:63], s[20:21], v[70:71]
	v_fma_f64 v[110:111], v[60:61], s[20:21], v[68:69]
	v_add_f64 v[60:61], v[104:105], -v[84:85]
	v_add_f64 v[62:63], v[86:87], v[106:107]
	v_add_f64 v[68:69], v[92:93], v[80:81]
	v_add_f64 v[70:71], v[82:83], -v[94:95]
	v_add_f64 v[80:81], v[80:81], -v[92:93]
	v_add_f64 v[82:83], v[94:95], v[82:83]
	v_add_f64 v[84:85], v[126:127], v[100:101]
	;; [unrolled: 1-line block ×3, first 2 shown]
	v_add_f64 v[92:93], v[126:127], -v[100:101]
	v_add_f64 v[94:95], v[128:129], -v[102:103]
	v_add_f64 v[100:101], v[140:141], v[136:137]
	v_add_f64 v[102:103], v[142:143], v[138:139]
	v_add_f64 v[72:73], v[76:77], -v[108:109]
	v_add_f64 v[74:75], v[110:111], v[78:79]
	v_add_f64 v[76:77], v[108:109], v[76:77]
	v_add_f64 v[78:79], v[78:79], -v[110:111]
	v_add_f64 v[104:105], v[140:141], -v[136:137]
	;; [unrolled: 1-line block ×3, first 2 shown]
	v_add_f64 v[108:109], v[144:145], v[132:133]
	v_add_f64 v[110:111], v[130:131], v[134:135]
	v_add_f64 v[126:127], v[132:133], -v[144:145]
	v_add_f64 v[128:129], v[134:135], -v[130:131]
	v_add_f64 v[130:131], v[100:101], v[84:85]
	v_add_f64 v[132:133], v[102:103], v[86:87]
	v_add_f64 v[134:135], v[100:101], -v[84:85]
	v_add_f64 v[136:137], v[102:103], -v[86:87]
	;; [unrolled: 1-line block ×6, first 2 shown]
	v_add_f64 v[138:139], v[126:127], v[104:105]
	v_add_f64 v[140:141], v[128:129], v[106:107]
	v_add_f64 v[142:143], v[126:127], -v[104:105]
	v_add_f64 v[144:145], v[128:129], -v[106:107]
	v_add_f64 v[108:109], v[108:109], v[130:131]
	v_add_f64 v[110:111], v[110:111], v[132:133]
	v_add_f64 v[104:105], v[104:105], -v[92:93]
	v_add_f64 v[106:107], v[106:107], -v[94:95]
	;; [unrolled: 1-line block ×4, first 2 shown]
	v_add_f64 v[92:93], v[138:139], v[92:93]
	v_add_f64 v[94:95], v[140:141], v[94:95]
	v_add_f64 v[28:29], v[28:29], v[108:109]
	v_add_f64 v[30:31], v[30:31], v[110:111]
	v_mul_f64 v[84:85], v[84:85], s[10:11]
	v_mul_f64 v[86:87], v[86:87], s[10:11]
	;; [unrolled: 1-line block ×8, first 2 shown]
	v_fma_f64 v[108:109], v[108:109], s[6:7], v[28:29]
	v_fma_f64 v[110:111], v[110:111], s[6:7], v[30:31]
	;; [unrolled: 1-line block ×4, first 2 shown]
	v_fma_f64 v[130:131], v[134:135], s[16:17], -v[130:131]
	v_fma_f64 v[132:133], v[136:137], s[16:17], -v[132:133]
	;; [unrolled: 1-line block ×4, first 2 shown]
	v_fma_f64 v[134:135], v[126:127], s[24:25], v[138:139]
	v_fma_f64 v[106:107], v[106:107], s[4:5], -v[140:141]
	v_fma_f64 v[126:127], v[126:127], s[26:27], -v[142:143]
	v_fma_f64 v[136:137], v[128:129], s[24:25], v[140:141]
	v_fma_f64 v[128:129], v[128:129], s[26:27], -v[144:145]
	v_fma_f64 v[104:105], v[104:105], s[4:5], -v[138:139]
	v_add_f64 v[138:139], v[100:101], v[108:109]
	v_add_f64 v[140:141], v[102:103], v[110:111]
	;; [unrolled: 1-line block ×5, first 2 shown]
	v_fma_f64 v[126:127], v[92:93], s[20:21], v[126:127]
	v_fma_f64 v[106:107], v[94:95], s[20:21], v[106:107]
	v_fma_f64 v[130:131], v[94:95], s[20:21], v[136:137]
	v_fma_f64 v[132:133], v[92:93], s[20:21], v[134:135]
	v_add_f64 v[108:109], v[84:85], v[108:109]
	v_fma_f64 v[128:129], v[94:95], s[20:21], v[128:129]
	v_fma_f64 v[104:105], v[92:93], s[20:21], v[104:105]
	v_add_f64 v[64:65], v[88:89], v[96:97]
	v_add_f64 v[66:67], v[98:99], -v[90:91]
	v_add_f64 v[84:85], v[96:97], -v[88:89]
	v_add_f64 v[94:95], v[110:111], -v[126:127]
	v_add_f64 v[96:97], v[100:101], -v[106:107]
	v_add_f64 v[100:101], v[106:107], v[100:101]
	v_add_f64 v[106:107], v[126:127], v[110:111]
	v_mov_b32_e32 v126, 0x1180
	v_add_f64 v[86:87], v[90:91], v[98:99]
	v_add_f64 v[88:89], v[130:131], v[138:139]
	v_add_f64 v[90:91], v[140:141], -v[132:133]
	v_cndmask_b32_e64 v126, 0, v126, s[2:3]
	v_add_f64 v[92:93], v[128:129], v[108:109]
	v_add3_u32 v122, 0, v126, v122
	v_add_f64 v[98:99], v[104:105], v[102:103]
	ds_write_b128 v122, v[40:43]
	ds_write_b128 v122, v[36:39] offset:640
	ds_write_b128 v122, v[44:47] offset:1280
	;; [unrolled: 1-line block ×6, first 2 shown]
	v_mov_b32_e32 v37, 4
	v_add_f64 v[102:103], v[102:103], -v[104:105]
	v_mul_u32_u24_e32 v36, 0x1180, v116
	v_lshlrev_b32_sdwa v38, v37, v123 dst_sel:DWORD dst_unused:UNUSED_PAD src0_sel:DWORD src1_sel:BYTE_0
	v_add_f64 v[104:105], v[108:109], -v[128:129]
	v_add3_u32 v36, 0, v36, v38
	v_add_f64 v[108:109], v[138:139], -v[130:131]
	v_add_f64 v[110:111], v[132:133], v[140:141]
	ds_write_b128 v36, v[32:35]
	ds_write_b128 v36, v[64:67] offset:640
	ds_write_b128 v36, v[68:71] offset:1280
	;; [unrolled: 1-line block ×6, first 2 shown]
	v_mul_u32_u24_e32 v32, 0x1180, v124
	v_lshlrev_b32_sdwa v33, v37, v125 dst_sel:DWORD dst_unused:UNUSED_PAD src0_sel:DWORD src1_sel:BYTE_0
	v_add3_u32 v32, 0, v32, v33
	ds_write_b128 v32, v[28:31]
	ds_write_b128 v32, v[88:91] offset:640
	ds_write_b128 v32, v[92:95] offset:1280
	;; [unrolled: 1-line block ×6, first 2 shown]
	s_and_saveexec_b64 s[2:3], vcc
	s_cbranch_execz .LBB0_33
; %bb.32:
	v_mul_lo_u16_sdwa v28, v119, s28 dst_sel:DWORD dst_unused:UNUSED_PAD src0_sel:BYTE_0 src1_sel:DWORD
	v_lshrrev_b16_e32 v28, 13, v28
	v_mul_lo_u16_e32 v28, 40, v28
	v_sub_u16_e32 v28, v119, v28
	v_and_b32_e32 v64, 0xff, v28
	v_mul_u32_u24_e32 v28, 6, v64
	v_lshlrev_b32_e32 v52, 4, v28
	global_load_dwordx4 v[28:31], v52, s[8:9] offset:656
	global_load_dwordx4 v[32:35], v52, s[8:9] offset:640
	;; [unrolled: 1-line block ×6, first 2 shown]
	s_waitcnt vmcnt(5)
	v_mul_f64 v[52:53], v[2:3], v[30:31]
	s_waitcnt vmcnt(4)
	v_mul_f64 v[54:55], v[18:19], v[34:35]
	;; [unrolled: 2-line block ×6, first 2 shown]
	v_mul_f64 v[38:39], v[12:13], v[38:39]
	v_mul_f64 v[42:43], v[20:21], v[42:43]
	;; [unrolled: 1-line block ×6, first 2 shown]
	v_fma_f64 v[12:13], v[12:13], v[36:37], v[56:57]
	v_fma_f64 v[20:21], v[20:21], v[40:41], v[58:59]
	;; [unrolled: 1-line block ×4, first 2 shown]
	v_fma_f64 v[14:15], v[14:15], v[36:37], -v[38:39]
	v_fma_f64 v[22:23], v[22:23], v[40:41], -v[42:43]
	;; [unrolled: 1-line block ×4, first 2 shown]
	v_fma_f64 v[0:1], v[0:1], v[28:29], v[52:53]
	v_fma_f64 v[16:17], v[16:17], v[32:33], v[54:55]
	v_fma_f64 v[18:19], v[18:19], v[32:33], -v[34:35]
	v_fma_f64 v[2:3], v[2:3], v[28:29], -v[30:31]
	v_add_f64 v[30:31], v[12:13], -v[20:21]
	v_add_f64 v[32:33], v[8:9], -v[24:25]
	v_add_f64 v[36:37], v[14:15], v[22:23]
	v_add_f64 v[38:39], v[10:11], v[26:27]
	;; [unrolled: 1-line block ×4, first 2 shown]
	v_add_f64 v[28:29], v[0:1], -v[16:17]
	v_add_f64 v[34:35], v[18:19], v[2:3]
	v_add_f64 v[0:1], v[16:17], v[0:1]
	v_add_f64 v[2:3], v[2:3], -v[18:19]
	v_add_f64 v[14:15], v[14:15], -v[22:23]
	;; [unrolled: 1-line block ×3, first 2 shown]
	v_add_f64 v[26:27], v[36:37], v[38:39]
	v_add_f64 v[42:43], v[12:13], v[8:9]
	;; [unrolled: 1-line block ×3, first 2 shown]
	v_add_f64 v[18:19], v[28:29], -v[30:31]
	v_add_f64 v[20:21], v[32:33], -v[28:29]
	;; [unrolled: 1-line block ×8, first 2 shown]
	v_add_f64 v[26:27], v[34:35], v[26:27]
	v_add_f64 v[38:39], v[0:1], v[42:43]
	;; [unrolled: 1-line block ×3, first 2 shown]
	v_add_f64 v[30:31], v[30:31], -v[32:33]
	v_add_f64 v[8:9], v[12:13], -v[8:9]
	;; [unrolled: 1-line block ×4, first 2 shown]
	v_add_f64 v[14:15], v[16:17], v[32:33]
	v_mul_f64 v[16:17], v[18:19], s[18:19]
	v_mul_f64 v[24:25], v[24:25], s[10:11]
	;; [unrolled: 1-line block ×5, first 2 shown]
	v_add_f64 v[2:3], v[6:7], v[26:27]
	v_add_f64 v[0:1], v[4:5], v[38:39]
	;; [unrolled: 1-line block ×3, first 2 shown]
	v_mul_f64 v[42:43], v[30:31], s[4:5]
	v_mul_f64 v[44:45], v[12:13], s[4:5]
	v_mul_f64 v[18:19], v[22:23], s[14:15]
	v_fma_f64 v[46:47], v[20:21], s[24:25], v[16:17]
	v_fma_f64 v[22:23], v[22:23], s[14:15], v[24:25]
	;; [unrolled: 1-line block ×4, first 2 shown]
	v_fma_f64 v[28:29], v[8:9], s[22:23], -v[34:35]
	v_fma_f64 v[26:27], v[26:27], s[6:7], v[2:3]
	v_fma_f64 v[8:9], v[8:9], s[16:17], -v[32:33]
	v_fma_f64 v[32:33], v[38:39], s[6:7], v[0:1]
	v_fma_f64 v[20:21], v[20:21], s[26:27], -v[42:43]
	v_fma_f64 v[24:25], v[36:37], s[22:23], -v[24:25]
	;; [unrolled: 1-line block ×6, first 2 shown]
	v_fma_f64 v[30:31], v[14:15], s[20:21], v[46:47]
	v_fma_f64 v[4:5], v[10:11], s[20:21], v[4:5]
	v_add_f64 v[36:37], v[22:23], v[26:27]
	v_add_f64 v[38:39], v[6:7], v[32:33]
	v_fma_f64 v[20:21], v[14:15], s[20:21], v[20:21]
	v_add_f64 v[22:23], v[24:25], v[26:27]
	v_fma_f64 v[34:35], v[10:11], s[20:21], v[34:35]
	;; [unrolled: 2-line block ×4, first 2 shown]
	v_add_f64 v[8:9], v[8:9], v[32:33]
	v_add_f64 v[26:27], v[36:37], -v[30:31]
	v_add_f64 v[24:25], v[4:5], v[38:39]
	v_add_f64 v[10:11], v[20:21], v[22:23]
	v_add_f64 v[22:23], v[22:23], -v[20:21]
	v_add_f64 v[20:21], v[34:35], v[28:29]
	v_add_f64 v[14:15], v[18:19], -v[16:17]
	;; [unrolled: 2-line block ×5, first 2 shown]
	v_lshl_add_u32 v28, v64, 4, 0
	ds_write_b128 v28, v[0:3] offset:17920
	ds_write_b128 v28, v[24:27] offset:18560
	ds_write_b128 v28, v[20:23] offset:19200
	ds_write_b128 v28, v[16:19] offset:19840
	ds_write_b128 v28, v[12:15] offset:20480
	ds_write_b128 v28, v[8:11] offset:21120
	ds_write_b128 v28, v[4:7] offset:21760
.LBB0_33:
	s_or_b64 exec, exec, s[2:3]
	v_lshlrev_b32_e32 v116, 2, v112
	v_lshlrev_b64 v[16:17], 4, v[116:117]
	v_mov_b32_e32 v123, s9
	v_add_co_u32_e32 v18, vcc, s8, v16
	v_addc_co_u32_e32 v19, vcc, v123, v17, vcc
	s_movk_i32 s2, 0x1160
	v_add_co_u32_e32 v16, vcc, s2, v18
	v_addc_co_u32_e32 v17, vcc, 0, v19, vcc
	s_movk_i32 s3, 0x1000
	v_add_co_u32_e32 v18, vcc, s3, v18
	v_addc_co_u32_e32 v19, vcc, 0, v19, vcc
	s_waitcnt lgkmcnt(0)
	; wave barrier
	s_waitcnt lgkmcnt(0)
	ds_read_b128 v[12:15], v118
	ds_read_b128 v[8:11], v118 offset:896
	ds_read_b128 v[20:23], v118 offset:8960
	;; [unrolled: 1-line block ×11, first 2 shown]
	global_load_dwordx4 v[52:55], v[18:19], off offset:352
	global_load_dwordx4 v[56:59], v[16:17], off offset:48
	global_load_dwordx4 v[60:63], v[16:17], off offset:32
	global_load_dwordx4 v[64:67], v[16:17], off offset:16
	v_lshlrev_b32_e32 v116, 2, v121
	v_lshlrev_b64 v[16:17], 4, v[116:117]
	v_lshlrev_b32_e32 v116, 2, v120
	v_add_co_u32_e32 v18, vcc, s8, v16
	v_addc_co_u32_e32 v19, vcc, v123, v17, vcc
	v_add_co_u32_e32 v16, vcc, s2, v18
	v_addc_co_u32_e32 v17, vcc, 0, v19, vcc
	v_add_co_u32_e32 v18, vcc, s3, v18
	v_addc_co_u32_e32 v19, vcc, 0, v19, vcc
	global_load_dwordx4 v[68:71], v[18:19], off offset:352
	global_load_dwordx4 v[72:75], v[16:17], off offset:48
	global_load_dwordx4 v[76:79], v[16:17], off offset:32
	global_load_dwordx4 v[80:83], v[16:17], off offset:16
	v_lshlrev_b64 v[16:17], 4, v[116:117]
	v_lshlrev_b32_e32 v116, 2, v119
	v_add_co_u32_e32 v18, vcc, s8, v16
	v_addc_co_u32_e32 v19, vcc, v123, v17, vcc
	v_add_co_u32_e32 v16, vcc, s2, v18
	v_addc_co_u32_e32 v17, vcc, 0, v19, vcc
	v_add_co_u32_e32 v18, vcc, s3, v18
	v_addc_co_u32_e32 v19, vcc, 0, v19, vcc
	global_load_dwordx4 v[84:87], v[18:19], off offset:352
	global_load_dwordx4 v[88:91], v[16:17], off offset:48
	global_load_dwordx4 v[92:95], v[16:17], off offset:32
	global_load_dwordx4 v[96:99], v[16:17], off offset:16
	;; [unrolled: 12-line block ×3, first 2 shown]
	v_lshlrev_b64 v[16:17], 4, v[116:117]
	s_mov_b32 s7, 0x3fee6f0e
	v_add_co_u32_e32 v18, vcc, s8, v16
	v_addc_co_u32_e32 v19, vcc, v123, v17, vcc
	v_add_co_u32_e32 v16, vcc, s3, v18
	v_addc_co_u32_e32 v17, vcc, 0, v19, vcc
	;; [unrolled: 2-line block ×3, first 2 shown]
	global_load_dwordx4 v[123:126], v[16:17], off offset:352
	global_load_dwordx4 v[127:130], v[116:117], off offset:32
	;; [unrolled: 1-line block ×3, first 2 shown]
	ds_read_b128 v[135:138], v118 offset:10752
	ds_read_b128 v[139:142], v118 offset:11648
	;; [unrolled: 1-line block ×12, first 2 shown]
	global_load_dwordx4 v[183:186], v[116:117], off offset:48
	ds_read_b128 v[179:182], v118 offset:21504
	s_mov_b32 s2, 0x134454ff
	s_mov_b32 s3, 0xbfee6f0e
	;; [unrolled: 1-line block ×9, first 2 shown]
	s_waitcnt lgkmcnt(0)
	; wave barrier
	s_waitcnt vmcnt(19) lgkmcnt(0)
	v_mul_f64 v[187:188], v[153:154], v[54:55]
	v_mul_f64 v[54:55], v[151:152], v[54:55]
	s_waitcnt vmcnt(17)
	v_mul_f64 v[189:190], v[165:166], v[62:63]
	s_waitcnt vmcnt(16)
	v_mul_f64 v[116:117], v[22:23], v[66:67]
	v_mul_f64 v[66:67], v[20:21], v[66:67]
	;; [unrolled: 1-line block ×3, first 2 shown]
	v_fma_f64 v[151:152], v[151:152], v[52:53], v[187:188]
	v_mul_f64 v[187:188], v[30:31], v[58:59]
	v_mul_f64 v[58:59], v[28:29], v[58:59]
	v_fma_f64 v[116:117], v[20:21], v[64:65], v[116:117]
	v_fma_f64 v[153:154], v[153:154], v[52:53], -v[54:55]
	v_fma_f64 v[22:23], v[22:23], v[64:65], -v[66:67]
	v_fma_f64 v[64:65], v[163:164], v[60:61], v[189:190]
	v_fma_f64 v[66:67], v[165:166], v[60:61], -v[62:63]
	s_waitcnt vmcnt(15)
	v_mul_f64 v[20:21], v[38:39], v[70:71]
	v_fma_f64 v[28:29], v[28:29], v[56:57], v[187:188]
	v_fma_f64 v[30:31], v[30:31], v[56:57], -v[58:59]
	v_mul_f64 v[52:53], v[36:37], v[70:71]
	s_waitcnt vmcnt(12)
	v_mul_f64 v[54:55], v[26:27], v[82:83]
	v_mul_f64 v[56:57], v[24:25], v[82:83]
	;; [unrolled: 1-line block ×4, first 2 shown]
	v_fma_f64 v[70:71], v[36:37], v[68:69], v[20:21]
	v_mul_f64 v[20:21], v[34:35], v[74:75]
	v_mul_f64 v[36:37], v[32:33], v[74:75]
	v_fma_f64 v[74:75], v[38:39], v[68:69], -v[52:53]
	v_fma_f64 v[68:69], v[24:25], v[80:81], v[54:55]
	v_fma_f64 v[78:79], v[26:27], v[80:81], -v[56:57]
	v_fma_f64 v[80:81], v[44:45], v[76:77], v[58:59]
	v_fma_f64 v[82:83], v[46:47], v[76:77], -v[60:61]
	s_waitcnt vmcnt(11)
	v_mul_f64 v[24:25], v[42:43], v[86:87]
	v_fma_f64 v[76:77], v[32:33], v[72:73], v[20:21]
	v_mul_f64 v[20:21], v[40:41], v[86:87]
	v_fma_f64 v[163:164], v[34:35], v[72:73], -v[36:37]
	s_waitcnt vmcnt(8)
	v_mul_f64 v[26:27], v[137:138], v[98:99]
	v_mul_f64 v[32:33], v[135:136], v[98:99]
	;; [unrolled: 1-line block ×4, first 2 shown]
	v_fma_f64 v[86:87], v[40:41], v[84:85], v[24:25]
	v_mul_f64 v[24:25], v[145:146], v[90:91]
	v_mul_f64 v[38:39], v[143:144], v[90:91]
	v_fma_f64 v[90:91], v[42:43], v[84:85], -v[20:21]
	v_fma_f64 v[84:85], v[135:136], v[96:97], v[26:27]
	v_fma_f64 v[94:95], v[137:138], v[96:97], -v[32:33]
	s_waitcnt vmcnt(7)
	v_mul_f64 v[20:21], v[157:158], v[102:103]
	v_fma_f64 v[96:97], v[48:49], v[92:93], v[34:35]
	v_fma_f64 v[98:99], v[50:51], v[92:93], -v[36:37]
	v_fma_f64 v[92:93], v[143:144], v[88:89], v[24:25]
	v_mul_f64 v[24:25], v[155:156], v[102:103]
	s_waitcnt vmcnt(4)
	v_mul_f64 v[26:27], v[141:142], v[121:122]
	v_mul_f64 v[32:33], v[139:140], v[121:122]
	;; [unrolled: 1-line block ×4, first 2 shown]
	v_fma_f64 v[102:103], v[155:156], v[100:101], v[20:21]
	v_mul_f64 v[20:21], v[149:150], v[106:107]
	v_fma_f64 v[135:136], v[145:146], v[88:89], -v[38:39]
	v_mul_f64 v[38:39], v[147:148], v[106:107]
	v_fma_f64 v[50:51], v[157:158], v[100:101], -v[24:25]
	v_fma_f64 v[60:61], v[139:140], v[119:120], v[26:27]
	v_fma_f64 v[52:53], v[141:142], v[119:120], -v[32:33]
	v_fma_f64 v[62:63], v[171:172], v[108:109], v[34:35]
	v_fma_f64 v[54:55], v[173:174], v[108:109], -v[36:37]
	s_waitcnt vmcnt(3)
	v_mul_f64 v[24:25], v[161:162], v[125:126]
	v_fma_f64 v[100:101], v[147:148], v[104:105], v[20:21]
	v_mul_f64 v[20:21], v[159:160], v[125:126]
	s_waitcnt vmcnt(1)
	v_mul_f64 v[26:27], v[169:170], v[133:134]
	v_add_f64 v[32:33], v[12:13], v[151:152]
	v_mul_f64 v[34:35], v[167:168], v[133:134]
	v_add_f64 v[36:37], v[116:117], v[64:65]
	v_fma_f64 v[56:57], v[149:150], v[104:105], -v[38:39]
	v_fma_f64 v[42:43], v[159:160], v[123:124], v[24:25]
	v_mul_f64 v[24:25], v[177:178], v[129:130]
	v_mul_f64 v[48:49], v[175:176], v[129:130]
	v_fma_f64 v[38:39], v[161:162], v[123:124], -v[20:21]
	v_fma_f64 v[44:45], v[167:168], v[131:132], v[26:27]
	v_add_f64 v[20:21], v[32:33], v[116:117]
	v_fma_f64 v[40:41], v[169:170], v[131:132], -v[34:35]
	v_fma_f64 v[26:27], v[36:37], -0.5, v[12:13]
	v_add_f64 v[32:33], v[153:154], -v[30:31]
	s_waitcnt vmcnt(0)
	v_mul_f64 v[34:35], v[179:180], v[185:186]
	v_add_f64 v[104:105], v[151:152], v[28:29]
	v_add_f64 v[106:107], v[151:152], -v[116:117]
	v_add_f64 v[108:109], v[28:29], -v[64:65]
	v_fma_f64 v[46:47], v[175:176], v[127:128], v[24:25]
	v_fma_f64 v[36:37], v[177:178], v[127:128], -v[48:49]
	v_mul_f64 v[24:25], v[181:182], v[185:186]
	v_fma_f64 v[72:73], v[32:33], s[2:3], v[26:27]
	v_add_f64 v[88:89], v[22:23], -v[66:67]
	v_fma_f64 v[48:49], v[181:182], v[183:184], -v[34:35]
	v_fma_f64 v[12:13], v[104:105], -0.5, v[12:13]
	v_add_f64 v[34:35], v[106:107], v[108:109]
	v_fma_f64 v[26:27], v[32:33], s[6:7], v[26:27]
	v_add_f64 v[106:107], v[116:117], -v[151:152]
	v_add_f64 v[108:109], v[64:65], -v[28:29]
	v_add_f64 v[20:21], v[20:21], v[64:65]
	v_fma_f64 v[58:59], v[179:180], v[183:184], v[24:25]
	v_fma_f64 v[24:25], v[88:89], s[4:5], v[72:73]
	v_add_f64 v[72:73], v[22:23], v[66:67]
	v_fma_f64 v[104:105], v[88:89], s[6:7], v[12:13]
	v_fma_f64 v[12:13], v[88:89], s[2:3], v[12:13]
	;; [unrolled: 1-line block ×3, first 2 shown]
	v_add_f64 v[88:89], v[106:107], v[108:109]
	v_add_f64 v[108:109], v[153:154], v[30:31]
	;; [unrolled: 1-line block ×4, first 2 shown]
	v_fma_f64 v[72:73], v[72:73], -0.5, v[14:15]
	v_add_f64 v[119:120], v[151:152], -v[28:29]
	v_fma_f64 v[28:29], v[32:33], s[4:5], v[104:105]
	v_fma_f64 v[104:105], v[32:33], s[8:9], v[12:13]
	v_add_f64 v[64:65], v[116:117], -v[64:65]
	v_fma_f64 v[14:15], v[108:109], -0.5, v[14:15]
	v_fma_f64 v[32:33], v[34:35], s[10:11], v[24:25]
	v_add_f64 v[106:107], v[110:111], v[22:23]
	v_fma_f64 v[12:13], v[34:35], s[10:11], v[26:27]
	v_fma_f64 v[110:111], v[119:120], s[6:7], v[72:73]
	;; [unrolled: 1-line block ×4, first 2 shown]
	v_add_f64 v[104:105], v[68:69], v[80:81]
	v_fma_f64 v[108:109], v[64:65], s[2:3], v[14:15]
	v_fma_f64 v[28:29], v[88:89], s[10:11], v[28:29]
	v_add_f64 v[26:27], v[106:107], v[66:67]
	v_add_f64 v[88:89], v[153:154], -v[22:23]
	v_fma_f64 v[34:35], v[64:65], s[8:9], v[110:111]
	v_add_f64 v[106:107], v[30:31], -v[66:67]
	v_add_f64 v[22:23], v[22:23], -v[153:154]
	;; [unrolled: 1-line block ×3, first 2 shown]
	v_fma_f64 v[14:15], v[64:65], s[6:7], v[14:15]
	v_add_f64 v[110:111], v[8:9], v[70:71]
	v_fma_f64 v[104:105], v[104:105], -0.5, v[8:9]
	v_add_f64 v[116:117], v[74:75], -v[163:164]
	v_fma_f64 v[64:65], v[64:65], s[4:5], v[72:73]
	v_fma_f64 v[72:73], v[119:120], s[8:9], v[108:109]
	v_add_f64 v[108:109], v[70:71], v[76:77]
	v_add_f64 v[88:89], v[88:89], v[106:107]
	;; [unrolled: 1-line block ×3, first 2 shown]
	v_fma_f64 v[106:107], v[119:120], s[4:5], v[14:15]
	v_add_f64 v[110:111], v[110:111], v[68:69]
	v_fma_f64 v[119:120], v[116:117], s[2:3], v[104:105]
	v_add_f64 v[121:122], v[78:79], -v[82:83]
	v_add_f64 v[22:23], v[26:27], v[30:31]
	v_fma_f64 v[8:9], v[108:109], -0.5, v[8:9]
	v_fma_f64 v[14:15], v[88:89], s[10:11], v[64:65]
	v_fma_f64 v[30:31], v[66:67], s[10:11], v[72:73]
	;; [unrolled: 1-line block ×3, first 2 shown]
	v_add_f64 v[64:65], v[110:111], v[80:81]
	v_add_f64 v[72:73], v[70:71], -v[68:69]
	v_fma_f64 v[66:67], v[121:122], s[4:5], v[119:120]
	v_add_f64 v[106:107], v[76:77], -v[80:81]
	v_fma_f64 v[108:109], v[121:122], s[6:7], v[8:9]
	v_add_f64 v[110:111], v[68:69], -v[70:71]
	v_add_f64 v[119:120], v[80:81], -v[76:77]
	v_fma_f64 v[8:9], v[121:122], s[2:3], v[8:9]
	v_fma_f64 v[34:35], v[88:89], s[10:11], v[34:35]
	v_add_f64 v[88:89], v[78:79], v[82:83]
	v_fma_f64 v[104:105], v[116:117], s[6:7], v[104:105]
	v_add_f64 v[72:73], v[72:73], v[106:107]
	;; [unrolled: 2-line block ×3, first 2 shown]
	v_add_f64 v[108:109], v[110:111], v[119:120]
	v_fma_f64 v[110:111], v[116:117], s[8:9], v[8:9]
	v_add_f64 v[116:117], v[74:75], v[163:164]
	v_fma_f64 v[88:89], v[88:89], -0.5, v[10:11]
	v_add_f64 v[70:71], v[70:71], -v[76:77]
	v_fma_f64 v[104:105], v[121:122], s[8:9], v[104:105]
	v_add_f64 v[80:81], v[68:69], -v[80:81]
	v_add_f64 v[119:120], v[123:124], v[78:79]
	v_add_f64 v[8:9], v[64:65], v[76:77]
	v_fma_f64 v[64:65], v[72:73], s[10:11], v[66:67]
	v_fma_f64 v[10:11], v[116:117], -0.5, v[10:11]
	v_fma_f64 v[76:77], v[108:109], s[10:11], v[110:111]
	v_fma_f64 v[121:122], v[70:71], s[6:7], v[88:89]
	;; [unrolled: 1-line block ×4, first 2 shown]
	v_add_f64 v[108:109], v[84:85], v[96:97]
	v_fma_f64 v[88:89], v[70:71], s[2:3], v[88:89]
	v_add_f64 v[66:67], v[119:120], v[82:83]
	v_fma_f64 v[116:117], v[80:81], s[2:3], v[10:11]
	v_add_f64 v[106:107], v[74:75], -v[78:79]
	v_fma_f64 v[104:105], v[80:81], s[8:9], v[121:122]
	v_add_f64 v[110:111], v[163:164], -v[82:83]
	v_add_f64 v[74:75], v[78:79], -v[74:75]
	;; [unrolled: 1-line block ×3, first 2 shown]
	v_fma_f64 v[10:11], v[80:81], s[6:7], v[10:11]
	v_add_f64 v[82:83], v[4:5], v[86:87]
	v_fma_f64 v[108:109], v[108:109], -0.5, v[4:5]
	v_add_f64 v[119:120], v[90:91], -v[135:136]
	v_fma_f64 v[80:81], v[80:81], s[4:5], v[88:89]
	v_fma_f64 v[88:89], v[70:71], s[8:9], v[116:117]
	v_add_f64 v[116:117], v[86:87], v[92:93]
	v_add_f64 v[106:107], v[106:107], v[110:111]
	;; [unrolled: 1-line block ×3, first 2 shown]
	v_fma_f64 v[110:111], v[70:71], s[4:5], v[10:11]
	v_add_f64 v[82:83], v[82:83], v[84:85]
	v_fma_f64 v[121:122], v[119:120], s[2:3], v[108:109]
	v_add_f64 v[123:124], v[94:95], -v[98:99]
	v_fma_f64 v[108:109], v[119:120], s[6:7], v[108:109]
	v_fma_f64 v[4:5], v[116:117], -0.5, v[4:5]
	v_fma_f64 v[70:71], v[106:107], s[10:11], v[80:81]
	v_fma_f64 v[74:75], v[78:79], s[10:11], v[88:89]
	;; [unrolled: 1-line block ×3, first 2 shown]
	v_add_f64 v[80:81], v[82:83], v[96:97]
	v_add_f64 v[88:89], v[86:87], -v[84:85]
	v_fma_f64 v[82:83], v[123:124], s[4:5], v[121:122]
	v_add_f64 v[110:111], v[92:93], -v[96:97]
	v_fma_f64 v[116:117], v[123:124], s[6:7], v[4:5]
	v_add_f64 v[121:122], v[84:85], -v[86:87]
	v_add_f64 v[125:126], v[96:97], -v[92:93]
	v_fma_f64 v[4:5], v[123:124], s[2:3], v[4:5]
	v_add_f64 v[10:11], v[66:67], v[163:164]
	v_fma_f64 v[66:67], v[106:107], s[10:11], v[104:105]
	v_add_f64 v[104:105], v[6:7], v[90:91]
	v_add_f64 v[106:107], v[94:95], v[98:99]
	;; [unrolled: 1-line block ×3, first 2 shown]
	v_fma_f64 v[108:109], v[123:124], s[8:9], v[108:109]
	v_fma_f64 v[110:111], v[119:120], s[4:5], v[116:117]
	v_add_f64 v[116:117], v[121:122], v[125:126]
	v_fma_f64 v[119:120], v[119:120], s[8:9], v[4:5]
	v_add_f64 v[121:122], v[90:91], v[135:136]
	v_add_f64 v[104:105], v[104:105], v[94:95]
	v_fma_f64 v[106:107], v[106:107], -0.5, v[6:7]
	v_add_f64 v[86:87], v[86:87], -v[92:93]
	v_add_f64 v[96:97], v[84:85], -v[96:97]
	v_add_f64 v[4:5], v[80:81], v[92:93]
	v_fma_f64 v[80:81], v[88:89], s[10:11], v[82:83]
	v_fma_f64 v[84:85], v[88:89], s[10:11], v[108:109]
	;; [unrolled: 1-line block ×4, first 2 shown]
	v_fma_f64 v[82:83], v[121:122], -0.5, v[6:7]
	v_add_f64 v[108:109], v[90:91], -v[94:95]
	v_add_f64 v[110:111], v[135:136], -v[98:99]
	v_add_f64 v[116:117], v[0:1], v[102:103]
	v_add_f64 v[104:105], v[104:105], v[98:99]
	v_fma_f64 v[123:124], v[86:87], s[6:7], v[106:107]
	v_fma_f64 v[106:107], v[86:87], s[2:3], v[106:107]
	v_add_f64 v[119:120], v[60:61], v[62:63]
	v_fma_f64 v[121:122], v[96:97], s[2:3], v[82:83]
	v_add_f64 v[90:91], v[94:95], -v[90:91]
	v_add_f64 v[94:95], v[98:99], -v[135:136]
	v_add_f64 v[98:99], v[108:109], v[110:111]
	v_add_f64 v[108:109], v[116:117], v[60:61]
	;; [unrolled: 1-line block ×3, first 2 shown]
	v_fma_f64 v[104:105], v[96:97], s[8:9], v[123:124]
	v_fma_f64 v[82:83], v[96:97], s[6:7], v[82:83]
	;; [unrolled: 1-line block ×3, first 2 shown]
	v_fma_f64 v[106:107], v[119:120], -0.5, v[0:1]
	v_add_f64 v[110:111], v[50:51], -v[56:57]
	v_fma_f64 v[116:117], v[86:87], s[8:9], v[121:122]
	v_add_f64 v[94:95], v[90:91], v[94:95]
	v_add_f64 v[121:122], v[102:103], v[100:101]
	;; [unrolled: 1-line block ×3, first 2 shown]
	v_fma_f64 v[119:120], v[86:87], s[4:5], v[82:83]
	v_fma_f64 v[82:83], v[98:99], s[10:11], v[104:105]
	;; [unrolled: 1-line block ×4, first 2 shown]
	v_add_f64 v[98:99], v[52:53], -v[54:55]
	v_fma_f64 v[90:91], v[94:95], s[10:11], v[116:117]
	v_fma_f64 v[104:105], v[121:122], -0.5, v[0:1]
	v_add_f64 v[0:1], v[108:109], v[100:101]
	v_add_f64 v[108:109], v[102:103], -v[60:61]
	v_add_f64 v[116:117], v[100:101], -v[62:63]
	v_fma_f64 v[106:107], v[110:111], s[6:7], v[106:107]
	v_fma_f64 v[94:95], v[94:95], s[10:11], v[119:120]
	;; [unrolled: 1-line block ×3, first 2 shown]
	v_add_f64 v[119:120], v[2:3], v[50:51]
	v_add_f64 v[121:122], v[52:53], v[54:55]
	v_fma_f64 v[123:124], v[98:99], s[6:7], v[104:105]
	v_add_f64 v[125:126], v[60:61], -v[102:103]
	v_add_f64 v[127:128], v[62:63], -v[100:101]
	v_add_f64 v[108:109], v[108:109], v[116:117]
	v_fma_f64 v[106:107], v[98:99], s[8:9], v[106:107]
	v_fma_f64 v[98:99], v[98:99], s[2:3], v[104:105]
	v_add_f64 v[104:105], v[119:120], v[52:53]
	v_fma_f64 v[116:117], v[121:122], -0.5, v[2:3]
	v_add_f64 v[102:103], v[102:103], -v[100:101]
	v_fma_f64 v[119:120], v[110:111], s[4:5], v[123:124]
	v_add_f64 v[121:122], v[125:126], v[127:128]
	v_fma_f64 v[96:97], v[108:109], s[10:11], v[96:97]
	v_fma_f64 v[100:101], v[108:109], s[10:11], v[106:107]
	;; [unrolled: 1-line block ×3, first 2 shown]
	v_add_f64 v[108:109], v[50:51], v[56:57]
	v_add_f64 v[106:107], v[104:105], v[54:55]
	v_fma_f64 v[110:111], v[102:103], s[6:7], v[116:117]
	v_add_f64 v[62:63], v[60:61], -v[62:63]
	v_fma_f64 v[60:61], v[121:122], s[10:11], v[119:120]
	v_add_f64 v[119:120], v[44:45], v[46:47]
	v_add_f64 v[123:124], v[50:51], -v[52:53]
	v_fma_f64 v[104:105], v[121:122], s[10:11], v[98:99]
	v_fma_f64 v[98:99], v[108:109], -0.5, v[2:3]
	v_add_f64 v[125:126], v[56:57], -v[54:55]
	v_add_f64 v[2:3], v[106:107], v[56:57]
	v_fma_f64 v[106:107], v[62:63], s[8:9], v[110:111]
	v_add_f64 v[108:109], v[16:17], v[42:43]
	v_fma_f64 v[110:111], v[119:120], -0.5, v[16:17]
	v_add_f64 v[119:120], v[38:39], -v[48:49]
	v_fma_f64 v[116:117], v[102:103], s[2:3], v[116:117]
	v_add_f64 v[50:51], v[52:53], -v[50:51]
	v_add_f64 v[52:53], v[54:55], -v[56:57]
	v_fma_f64 v[54:55], v[62:63], s[6:7], v[98:99]
	v_add_f64 v[121:122], v[123:124], v[125:126]
	v_fma_f64 v[123:124], v[62:63], s[2:3], v[98:99]
	v_add_f64 v[56:57], v[108:109], v[44:45]
	v_fma_f64 v[98:99], v[119:120], s[2:3], v[110:111]
	v_add_f64 v[108:109], v[40:41], -v[36:37]
	v_fma_f64 v[62:63], v[62:63], s[4:5], v[116:117]
	v_add_f64 v[50:51], v[50:51], v[52:53]
	v_fma_f64 v[52:53], v[102:103], s[4:5], v[54:55]
	v_add_f64 v[125:126], v[42:43], -v[44:45]
	v_add_f64 v[127:128], v[58:59], -v[46:47]
	v_add_f64 v[116:117], v[42:43], v[58:59]
	v_fma_f64 v[123:124], v[102:103], s[8:9], v[123:124]
	v_add_f64 v[54:55], v[56:57], v[46:47]
	v_fma_f64 v[56:57], v[108:109], s[4:5], v[98:99]
	v_fma_f64 v[98:99], v[121:122], s[10:11], v[106:107]
	;; [unrolled: 1-line block ×4, first 2 shown]
	v_add_f64 v[52:53], v[40:41], v[36:37]
	v_add_f64 v[121:122], v[38:39], v[48:49]
	;; [unrolled: 1-line block ×3, first 2 shown]
	v_fma_f64 v[116:117], v[116:117], -0.5, v[16:17]
	v_fma_f64 v[62:63], v[50:51], s[10:11], v[123:124]
	v_add_f64 v[16:17], v[54:55], v[58:59]
	v_fma_f64 v[54:55], v[119:120], s[6:7], v[110:111]
	v_add_f64 v[110:111], v[44:45], -v[42:43]
	v_add_f64 v[123:124], v[46:47], -v[58:59]
	v_add_f64 v[127:128], v[18:19], v[38:39]
	v_fma_f64 v[52:53], v[52:53], -0.5, v[18:19]
	v_add_f64 v[42:43], v[42:43], -v[58:59]
	v_add_f64 v[44:45], v[44:45], -v[46:47]
	v_fma_f64 v[18:19], v[121:122], -0.5, v[18:19]
	v_fma_f64 v[50:51], v[125:126], s[10:11], v[56:57]
	v_fma_f64 v[56:57], v[108:109], s[6:7], v[116:117]
	;; [unrolled: 1-line block ×3, first 2 shown]
	v_add_f64 v[46:47], v[110:111], v[123:124]
	v_fma_f64 v[58:59], v[108:109], s[2:3], v[116:117]
	v_add_f64 v[108:109], v[127:128], v[40:41]
	v_fma_f64 v[110:111], v[42:43], s[6:7], v[52:53]
	v_add_f64 v[116:117], v[38:39], -v[40:41]
	v_add_f64 v[121:122], v[48:49], -v[36:37]
	v_fma_f64 v[52:53], v[42:43], s[2:3], v[52:53]
	v_fma_f64 v[123:124], v[44:45], s[2:3], v[18:19]
	v_add_f64 v[38:39], v[40:41], -v[38:39]
	v_add_f64 v[40:41], v[36:37], -v[48:49]
	v_fma_f64 v[18:19], v[44:45], s[6:7], v[18:19]
	v_fma_f64 v[56:57], v[119:120], s[4:5], v[56:57]
	v_fma_f64 v[58:59], v[119:120], s[8:9], v[58:59]
	v_add_f64 v[108:109], v[108:109], v[36:37]
	v_fma_f64 v[110:111], v[44:45], s[8:9], v[110:111]
	v_add_f64 v[116:117], v[116:117], v[121:122]
	v_fma_f64 v[119:120], v[44:45], s[4:5], v[52:53]
	v_fma_f64 v[121:122], v[42:43], s[8:9], v[123:124]
	v_add_f64 v[123:124], v[38:39], v[40:41]
	v_fma_f64 v[127:128], v[42:43], s[4:5], v[18:19]
	v_fma_f64 v[36:37], v[125:126], s[10:11], v[54:55]
	;; [unrolled: 1-line block ×4, first 2 shown]
	v_add_f64 v[18:19], v[108:109], v[48:49]
	v_fma_f64 v[52:53], v[116:117], s[10:11], v[110:111]
	v_fma_f64 v[38:39], v[116:117], s[10:11], v[119:120]
	;; [unrolled: 1-line block ×4, first 2 shown]
	ds_write_b128 v118, v[20:23]
	ds_write_b128 v118, v[32:35] offset:4480
	ds_write_b128 v118, v[28:31] offset:8960
	;; [unrolled: 1-line block ×24, first 2 shown]
	s_waitcnt lgkmcnt(0)
	; wave barrier
	s_waitcnt lgkmcnt(0)
	s_and_saveexec_b64 s[2:3], s[0:1]
	s_cbranch_execz .LBB0_35
; %bb.34:
	v_lshl_add_u32 v10, v112, 4, 0
	v_mov_b32_e32 v113, 0
	ds_read_b128 v[0:3], v10
	v_mov_b32_e32 v4, s13
	v_add_co_u32_e32 v11, vcc, s12, v114
	v_addc_co_u32_e32 v12, vcc, v4, v115, vcc
	v_lshlrev_b64 v[4:5], 4, v[112:113]
	v_add_co_u32_e32 v8, vcc, v11, v4
	v_addc_co_u32_e32 v9, vcc, v12, v5, vcc
	ds_read_b128 v[4:7], v10 offset:896
	s_waitcnt lgkmcnt(1)
	global_store_dwordx4 v[8:9], v[0:3], off
	s_nop 0
	v_add_u32_e32 v0, 56, v112
	v_mov_b32_e32 v1, v113
	v_lshlrev_b64 v[0:1], 4, v[0:1]
	v_add_co_u32_e32 v0, vcc, v11, v0
	v_addc_co_u32_e32 v1, vcc, v12, v1, vcc
	s_waitcnt lgkmcnt(0)
	global_store_dwordx4 v[0:1], v[4:7], off
	ds_read_b128 v[0:3], v10 offset:1792
	v_add_u32_e32 v4, 0x70, v112
	v_mov_b32_e32 v5, v113
	v_lshlrev_b64 v[4:5], 4, v[4:5]
	v_add_co_u32_e32 v8, vcc, v11, v4
	v_addc_co_u32_e32 v9, vcc, v12, v5, vcc
	ds_read_b128 v[4:7], v10 offset:2688
	s_waitcnt lgkmcnt(1)
	global_store_dwordx4 v[8:9], v[0:3], off
	s_nop 0
	v_add_u32_e32 v0, 0xa8, v112
	v_mov_b32_e32 v1, v113
	v_lshlrev_b64 v[0:1], 4, v[0:1]
	v_add_co_u32_e32 v0, vcc, v11, v0
	v_addc_co_u32_e32 v1, vcc, v12, v1, vcc
	s_waitcnt lgkmcnt(0)
	global_store_dwordx4 v[0:1], v[4:7], off
	ds_read_b128 v[0:3], v10 offset:3584
	v_add_u32_e32 v4, 0xe0, v112
	v_mov_b32_e32 v5, v113
	v_lshlrev_b64 v[4:5], 4, v[4:5]
	v_add_co_u32_e32 v8, vcc, v11, v4
	v_addc_co_u32_e32 v9, vcc, v12, v5, vcc
	ds_read_b128 v[4:7], v10 offset:4480
	s_waitcnt lgkmcnt(1)
	global_store_dwordx4 v[8:9], v[0:3], off
	s_nop 0
	v_add_u32_e32 v0, 0x118, v112
	v_mov_b32_e32 v1, v113
	v_lshlrev_b64 v[0:1], 4, v[0:1]
	v_add_co_u32_e32 v0, vcc, v11, v0
	v_addc_co_u32_e32 v1, vcc, v12, v1, vcc
	s_waitcnt lgkmcnt(0)
	global_store_dwordx4 v[0:1], v[4:7], off
	ds_read_b128 v[0:3], v10 offset:5376
	v_add_u32_e32 v4, 0x150, v112
	v_mov_b32_e32 v5, v113
	v_lshlrev_b64 v[4:5], 4, v[4:5]
	v_add_co_u32_e32 v8, vcc, v11, v4
	v_addc_co_u32_e32 v9, vcc, v12, v5, vcc
	ds_read_b128 v[4:7], v10 offset:6272
	s_waitcnt lgkmcnt(1)
	global_store_dwordx4 v[8:9], v[0:3], off
	s_nop 0
	v_add_u32_e32 v0, 0x188, v112
	v_mov_b32_e32 v1, v113
	v_lshlrev_b64 v[0:1], 4, v[0:1]
	v_add_co_u32_e32 v0, vcc, v11, v0
	v_addc_co_u32_e32 v1, vcc, v12, v1, vcc
	s_waitcnt lgkmcnt(0)
	global_store_dwordx4 v[0:1], v[4:7], off
	ds_read_b128 v[0:3], v10 offset:7168
	v_add_u32_e32 v4, 0x1c0, v112
	v_mov_b32_e32 v5, v113
	v_lshlrev_b64 v[4:5], 4, v[4:5]
	v_add_co_u32_e32 v8, vcc, v11, v4
	v_addc_co_u32_e32 v9, vcc, v12, v5, vcc
	ds_read_b128 v[4:7], v10 offset:8064
	s_waitcnt lgkmcnt(1)
	global_store_dwordx4 v[8:9], v[0:3], off
	s_nop 0
	v_add_u32_e32 v0, 0x1f8, v112
	v_mov_b32_e32 v1, v113
	v_lshlrev_b64 v[0:1], 4, v[0:1]
	v_add_co_u32_e32 v0, vcc, v11, v0
	v_addc_co_u32_e32 v1, vcc, v12, v1, vcc
	s_waitcnt lgkmcnt(0)
	global_store_dwordx4 v[0:1], v[4:7], off
	ds_read_b128 v[0:3], v10 offset:8960
	v_add_u32_e32 v4, 0x230, v112
	v_mov_b32_e32 v5, v113
	v_lshlrev_b64 v[4:5], 4, v[4:5]
	v_add_co_u32_e32 v8, vcc, v11, v4
	v_addc_co_u32_e32 v9, vcc, v12, v5, vcc
	ds_read_b128 v[4:7], v10 offset:9856
	s_waitcnt lgkmcnt(1)
	global_store_dwordx4 v[8:9], v[0:3], off
	s_nop 0
	v_add_u32_e32 v0, 0x268, v112
	v_mov_b32_e32 v1, v113
	v_lshlrev_b64 v[0:1], 4, v[0:1]
	v_add_co_u32_e32 v0, vcc, v11, v0
	v_addc_co_u32_e32 v1, vcc, v12, v1, vcc
	s_waitcnt lgkmcnt(0)
	global_store_dwordx4 v[0:1], v[4:7], off
	ds_read_b128 v[0:3], v10 offset:10752
	v_add_u32_e32 v4, 0x2a0, v112
	v_mov_b32_e32 v5, v113
	v_lshlrev_b64 v[4:5], 4, v[4:5]
	v_add_co_u32_e32 v8, vcc, v11, v4
	v_addc_co_u32_e32 v9, vcc, v12, v5, vcc
	ds_read_b128 v[4:7], v10 offset:11648
	s_waitcnt lgkmcnt(1)
	global_store_dwordx4 v[8:9], v[0:3], off
	s_nop 0
	v_add_u32_e32 v0, 0x2d8, v112
	v_mov_b32_e32 v1, v113
	v_lshlrev_b64 v[0:1], 4, v[0:1]
	v_add_co_u32_e32 v0, vcc, v11, v0
	v_addc_co_u32_e32 v1, vcc, v12, v1, vcc
	s_waitcnt lgkmcnt(0)
	global_store_dwordx4 v[0:1], v[4:7], off
	ds_read_b128 v[0:3], v10 offset:12544
	v_add_u32_e32 v4, 0x310, v112
	v_mov_b32_e32 v5, v113
	v_lshlrev_b64 v[4:5], 4, v[4:5]
	v_add_co_u32_e32 v8, vcc, v11, v4
	v_addc_co_u32_e32 v9, vcc, v12, v5, vcc
	ds_read_b128 v[4:7], v10 offset:13440
	s_waitcnt lgkmcnt(1)
	global_store_dwordx4 v[8:9], v[0:3], off
	s_nop 0
	v_add_u32_e32 v0, 0x348, v112
	v_mov_b32_e32 v1, v113
	v_lshlrev_b64 v[0:1], 4, v[0:1]
	v_add_co_u32_e32 v0, vcc, v11, v0
	v_addc_co_u32_e32 v1, vcc, v12, v1, vcc
	s_waitcnt lgkmcnt(0)
	global_store_dwordx4 v[0:1], v[4:7], off
	ds_read_b128 v[0:3], v10 offset:14336
	v_add_u32_e32 v4, 0x380, v112
	v_mov_b32_e32 v5, v113
	v_lshlrev_b64 v[4:5], 4, v[4:5]
	v_add_co_u32_e32 v8, vcc, v11, v4
	v_addc_co_u32_e32 v9, vcc, v12, v5, vcc
	ds_read_b128 v[4:7], v10 offset:15232
	s_waitcnt lgkmcnt(1)
	global_store_dwordx4 v[8:9], v[0:3], off
	s_nop 0
	v_add_u32_e32 v0, 0x3b8, v112
	v_mov_b32_e32 v1, v113
	v_lshlrev_b64 v[0:1], 4, v[0:1]
	v_add_co_u32_e32 v0, vcc, v11, v0
	v_addc_co_u32_e32 v1, vcc, v12, v1, vcc
	s_waitcnt lgkmcnt(0)
	global_store_dwordx4 v[0:1], v[4:7], off
	ds_read_b128 v[0:3], v10 offset:16128
	v_add_u32_e32 v4, 0x3f0, v112
	v_mov_b32_e32 v5, v113
	v_lshlrev_b64 v[4:5], 4, v[4:5]
	v_add_co_u32_e32 v8, vcc, v11, v4
	v_addc_co_u32_e32 v9, vcc, v12, v5, vcc
	ds_read_b128 v[4:7], v10 offset:17024
	s_waitcnt lgkmcnt(1)
	global_store_dwordx4 v[8:9], v[0:3], off
	s_nop 0
	v_add_u32_e32 v0, 0x428, v112
	v_mov_b32_e32 v1, v113
	v_lshlrev_b64 v[0:1], 4, v[0:1]
	v_add_co_u32_e32 v0, vcc, v11, v0
	v_addc_co_u32_e32 v1, vcc, v12, v1, vcc
	s_waitcnt lgkmcnt(0)
	global_store_dwordx4 v[0:1], v[4:7], off
	ds_read_b128 v[0:3], v10 offset:17920
	v_add_u32_e32 v4, 0x460, v112
	v_mov_b32_e32 v5, v113
	v_lshlrev_b64 v[4:5], 4, v[4:5]
	v_add_co_u32_e32 v8, vcc, v11, v4
	v_addc_co_u32_e32 v9, vcc, v12, v5, vcc
	ds_read_b128 v[4:7], v10 offset:18816
	s_waitcnt lgkmcnt(1)
	global_store_dwordx4 v[8:9], v[0:3], off
	s_nop 0
	v_add_u32_e32 v0, 0x498, v112
	v_mov_b32_e32 v1, v113
	v_lshlrev_b64 v[0:1], 4, v[0:1]
	v_add_co_u32_e32 v0, vcc, v11, v0
	v_addc_co_u32_e32 v1, vcc, v12, v1, vcc
	s_waitcnt lgkmcnt(0)
	global_store_dwordx4 v[0:1], v[4:7], off
	ds_read_b128 v[0:3], v10 offset:19712
	v_add_u32_e32 v4, 0x4d0, v112
	v_mov_b32_e32 v5, v113
	v_lshlrev_b64 v[4:5], 4, v[4:5]
	v_add_co_u32_e32 v8, vcc, v11, v4
	v_addc_co_u32_e32 v9, vcc, v12, v5, vcc
	ds_read_b128 v[4:7], v10 offset:20608
	s_waitcnt lgkmcnt(1)
	global_store_dwordx4 v[8:9], v[0:3], off
	s_nop 0
	v_add_u32_e32 v0, 0x508, v112
	v_mov_b32_e32 v1, v113
	v_lshlrev_b64 v[0:1], 4, v[0:1]
	v_add_u32_e32 v112, 0x540, v112
	v_add_co_u32_e32 v0, vcc, v11, v0
	v_addc_co_u32_e32 v1, vcc, v12, v1, vcc
	s_waitcnt lgkmcnt(0)
	global_store_dwordx4 v[0:1], v[4:7], off
	ds_read_b128 v[0:3], v10 offset:21504
	v_lshlrev_b64 v[4:5], 4, v[112:113]
	v_add_co_u32_e32 v4, vcc, v11, v4
	v_addc_co_u32_e32 v5, vcc, v12, v5, vcc
	s_waitcnt lgkmcnt(0)
	global_store_dwordx4 v[4:5], v[0:3], off
.LBB0_35:
	s_endpgm
	.section	.rodata,"a",@progbits
	.p2align	6, 0x0
	.amdhsa_kernel fft_rtc_back_len1400_factors_2_2_2_5_7_5_wgs_56_tpt_56_halfLds_dp_ip_CI_unitstride_sbrr_C2R_dirReg
		.amdhsa_group_segment_fixed_size 0
		.amdhsa_private_segment_fixed_size 0
		.amdhsa_kernarg_size 88
		.amdhsa_user_sgpr_count 6
		.amdhsa_user_sgpr_private_segment_buffer 1
		.amdhsa_user_sgpr_dispatch_ptr 0
		.amdhsa_user_sgpr_queue_ptr 0
		.amdhsa_user_sgpr_kernarg_segment_ptr 1
		.amdhsa_user_sgpr_dispatch_id 0
		.amdhsa_user_sgpr_flat_scratch_init 0
		.amdhsa_user_sgpr_private_segment_size 0
		.amdhsa_uses_dynamic_stack 0
		.amdhsa_system_sgpr_private_segment_wavefront_offset 0
		.amdhsa_system_sgpr_workgroup_id_x 1
		.amdhsa_system_sgpr_workgroup_id_y 0
		.amdhsa_system_sgpr_workgroup_id_z 0
		.amdhsa_system_sgpr_workgroup_info 0
		.amdhsa_system_vgpr_workitem_id 0
		.amdhsa_next_free_vgpr 226
		.amdhsa_next_free_sgpr 29
		.amdhsa_reserve_vcc 1
		.amdhsa_reserve_flat_scratch 0
		.amdhsa_float_round_mode_32 0
		.amdhsa_float_round_mode_16_64 0
		.amdhsa_float_denorm_mode_32 3
		.amdhsa_float_denorm_mode_16_64 3
		.amdhsa_dx10_clamp 1
		.amdhsa_ieee_mode 1
		.amdhsa_fp16_overflow 0
		.amdhsa_exception_fp_ieee_invalid_op 0
		.amdhsa_exception_fp_denorm_src 0
		.amdhsa_exception_fp_ieee_div_zero 0
		.amdhsa_exception_fp_ieee_overflow 0
		.amdhsa_exception_fp_ieee_underflow 0
		.amdhsa_exception_fp_ieee_inexact 0
		.amdhsa_exception_int_div_zero 0
	.end_amdhsa_kernel
	.text
.Lfunc_end0:
	.size	fft_rtc_back_len1400_factors_2_2_2_5_7_5_wgs_56_tpt_56_halfLds_dp_ip_CI_unitstride_sbrr_C2R_dirReg, .Lfunc_end0-fft_rtc_back_len1400_factors_2_2_2_5_7_5_wgs_56_tpt_56_halfLds_dp_ip_CI_unitstride_sbrr_C2R_dirReg
                                        ; -- End function
	.section	.AMDGPU.csdata,"",@progbits
; Kernel info:
; codeLenInByte = 21256
; NumSgprs: 33
; NumVgprs: 226
; ScratchSize: 0
; MemoryBound: 0
; FloatMode: 240
; IeeeMode: 1
; LDSByteSize: 0 bytes/workgroup (compile time only)
; SGPRBlocks: 4
; VGPRBlocks: 56
; NumSGPRsForWavesPerEU: 33
; NumVGPRsForWavesPerEU: 226
; Occupancy: 1
; WaveLimiterHint : 1
; COMPUTE_PGM_RSRC2:SCRATCH_EN: 0
; COMPUTE_PGM_RSRC2:USER_SGPR: 6
; COMPUTE_PGM_RSRC2:TRAP_HANDLER: 0
; COMPUTE_PGM_RSRC2:TGID_X_EN: 1
; COMPUTE_PGM_RSRC2:TGID_Y_EN: 0
; COMPUTE_PGM_RSRC2:TGID_Z_EN: 0
; COMPUTE_PGM_RSRC2:TIDIG_COMP_CNT: 0
	.type	__hip_cuid_89834c82d65889d9,@object ; @__hip_cuid_89834c82d65889d9
	.section	.bss,"aw",@nobits
	.globl	__hip_cuid_89834c82d65889d9
__hip_cuid_89834c82d65889d9:
	.byte	0                               ; 0x0
	.size	__hip_cuid_89834c82d65889d9, 1

	.ident	"AMD clang version 19.0.0git (https://github.com/RadeonOpenCompute/llvm-project roc-6.4.0 25133 c7fe45cf4b819c5991fe208aaa96edf142730f1d)"
	.section	".note.GNU-stack","",@progbits
	.addrsig
	.addrsig_sym __hip_cuid_89834c82d65889d9
	.amdgpu_metadata
---
amdhsa.kernels:
  - .args:
      - .actual_access:  read_only
        .address_space:  global
        .offset:         0
        .size:           8
        .value_kind:     global_buffer
      - .offset:         8
        .size:           8
        .value_kind:     by_value
      - .actual_access:  read_only
        .address_space:  global
        .offset:         16
        .size:           8
        .value_kind:     global_buffer
      - .actual_access:  read_only
        .address_space:  global
        .offset:         24
        .size:           8
        .value_kind:     global_buffer
      - .offset:         32
        .size:           8
        .value_kind:     by_value
      - .actual_access:  read_only
        .address_space:  global
        .offset:         40
        .size:           8
        .value_kind:     global_buffer
      - .actual_access:  read_only
        .address_space:  global
        .offset:         48
        .size:           8
        .value_kind:     global_buffer
      - .offset:         56
        .size:           4
        .value_kind:     by_value
      - .actual_access:  read_only
        .address_space:  global
        .offset:         64
        .size:           8
        .value_kind:     global_buffer
      - .actual_access:  read_only
        .address_space:  global
        .offset:         72
        .size:           8
        .value_kind:     global_buffer
      - .address_space:  global
        .offset:         80
        .size:           8
        .value_kind:     global_buffer
    .group_segment_fixed_size: 0
    .kernarg_segment_align: 8
    .kernarg_segment_size: 88
    .language:       OpenCL C
    .language_version:
      - 2
      - 0
    .max_flat_workgroup_size: 56
    .name:           fft_rtc_back_len1400_factors_2_2_2_5_7_5_wgs_56_tpt_56_halfLds_dp_ip_CI_unitstride_sbrr_C2R_dirReg
    .private_segment_fixed_size: 0
    .sgpr_count:     33
    .sgpr_spill_count: 0
    .symbol:         fft_rtc_back_len1400_factors_2_2_2_5_7_5_wgs_56_tpt_56_halfLds_dp_ip_CI_unitstride_sbrr_C2R_dirReg.kd
    .uniform_work_group_size: 1
    .uses_dynamic_stack: false
    .vgpr_count:     226
    .vgpr_spill_count: 0
    .wavefront_size: 64
amdhsa.target:   amdgcn-amd-amdhsa--gfx906
amdhsa.version:
  - 1
  - 2
...

	.end_amdgpu_metadata
